;; amdgpu-corpus repo=ROCm/Tensile kind=harvested arch=n/a opt=n/a

/******************************************/
/* Function Prefix                        */
/******************************************/



/******************************************/
/* Begin Kernel                           */
/******************************************/

// Component.Signature.SignatureDefault
.amdgcn_target "amdgcn-amd-amdhsa--gfx90a"
.text
.protected Cijk_Alik_Bjlk_HHS_BH_GB_MT32x64x64_SN_1LDSB0_APM1_AF0EM2_AF1EM1_AMAS3_ASGT_ASLT_ASAE01_ASCE01_ASEM2_BL1_BS1_CLR0_DTLA0_DTLB0_DTVA0_DVO0_EPS1_FL0_GLVWA4_GLVWB4_GRVW4_GSU1_GSUASB_GLS0_ISA90a_IU2_K1_KLA_LBSPPA0_LBSPPB0_LPA0_LPB0_LDL2_LRVW4_LDW0_FMA_MIAV0_MMFGLC_NTA0_NTB0_NTC0_NTD0_NEPBS0_NLCA1_NLCB1_ONLL1_OPLV0_PK0_PAP0_PGR1_PLR1_SIA1_SS0_SU32_SUM0_SUS256_SCIUI1_SPO0_SRVW0_SSO0_SVW4_SNLL0_TT4_4_TLDS0_UMLDSA0_UMLDSB0_USFGRO0_VAW2_VS1_VW4_VWB4_VFLRP0_WSGRA0_WSGRB0_WG8_16_1_WGM1
.globl Cijk_Alik_Bjlk_HHS_BH_GB_MT32x64x64_SN_1LDSB0_APM1_AF0EM2_AF1EM1_AMAS3_ASGT_ASLT_ASAE01_ASCE01_ASEM2_BL1_BS1_CLR0_DTLA0_DTLB0_DTVA0_DVO0_EPS1_FL0_GLVWA4_GLVWB4_GRVW4_GSU1_GSUASB_GLS0_ISA90a_IU2_K1_KLA_LBSPPA0_LBSPPB0_LPA0_LPB0_LDL2_LRVW4_LDW0_FMA_MIAV0_MMFGLC_NTA0_NTB0_NTC0_NTD0_NEPBS0_NLCA1_NLCB1_ONLL1_OPLV0_PK0_PAP0_PGR1_PLR1_SIA1_SS0_SU32_SUM0_SUS256_SCIUI1_SPO0_SRVW0_SSO0_SVW4_SNLL0_TT4_4_TLDS0_UMLDSA0_UMLDSB0_USFGRO0_VAW2_VS1_VW4_VWB4_VFLRP0_WSGRA0_WSGRB0_WG8_16_1_WGM1
.p2align 8
.type Cijk_Alik_Bjlk_HHS_BH_GB_MT32x64x64_SN_1LDSB0_APM1_AF0EM2_AF1EM1_AMAS3_ASGT_ASLT_ASAE01_ASCE01_ASEM2_BL1_BS1_CLR0_DTLA0_DTLB0_DTVA0_DVO0_EPS1_FL0_GLVWA4_GLVWB4_GRVW4_GSU1_GSUASB_GLS0_ISA90a_IU2_K1_KLA_LBSPPA0_LBSPPB0_LPA0_LPB0_LDL2_LRVW4_LDW0_FMA_MIAV0_MMFGLC_NTA0_NTB0_NTC0_NTD0_NEPBS0_NLCA1_NLCB1_ONLL1_OPLV0_PK0_PAP0_PGR1_PLR1_SIA1_SS0_SU32_SUM0_SUS256_SCIUI1_SPO0_SRVW0_SSO0_SVW4_SNLL0_TT4_4_TLDS0_UMLDSA0_UMLDSB0_USFGRO0_VAW2_VS1_VW4_VWB4_VFLRP0_WSGRA0_WSGRB0_WG8_16_1_WGM1,@function
.section .rodata,#alloc
.p2align 6
.amdhsa_kernel Cijk_Alik_Bjlk_HHS_BH_GB_MT32x64x64_SN_1LDSB0_APM1_AF0EM2_AF1EM1_AMAS3_ASGT_ASLT_ASAE01_ASCE01_ASEM2_BL1_BS1_CLR0_DTLA0_DTLB0_DTVA0_DVO0_EPS1_FL0_GLVWA4_GLVWB4_GRVW4_GSU1_GSUASB_GLS0_ISA90a_IU2_K1_KLA_LBSPPA0_LBSPPB0_LPA0_LPB0_LDL2_LRVW4_LDW0_FMA_MIAV0_MMFGLC_NTA0_NTB0_NTC0_NTD0_NEPBS0_NLCA1_NLCB1_ONLL1_OPLV0_PK0_PAP0_PGR1_PLR1_SIA1_SS0_SU32_SUM0_SUS256_SCIUI1_SPO0_SRVW0_SSO0_SVW4_SNLL0_TT4_4_TLDS0_UMLDSA0_UMLDSB0_USFGRO0_VAW2_VS1_VW4_VWB4_VFLRP0_WSGRA0_WSGRB0_WG8_16_1_WGM1
  .amdhsa_user_sgpr_kernarg_segment_ptr 1
  .amdhsa_user_sgpr_kernarg_preload_offset 0
  .amdhsa_user_sgpr_kernarg_preload_length 0
  .amdhsa_user_sgpr_count 2
  .amdhsa_accum_offset 80 // accvgpr offset
  .amdhsa_next_free_vgpr 80 // vgprs
  .amdhsa_next_free_sgpr 66 // sgprs
  .amdhsa_group_segment_fixed_size 28672 // lds bytes
  .amdhsa_private_segment_fixed_size 0
  .amdhsa_system_sgpr_workgroup_id_x 1
  .amdhsa_system_sgpr_workgroup_id_y 1
  .amdhsa_system_sgpr_workgroup_id_z 1
  .amdhsa_system_vgpr_workitem_id 0
  .amdhsa_float_denorm_mode_32 3
  .amdhsa_float_denorm_mode_16_64 3
.end_amdhsa_kernel
.text

/******************************************/
/* Optimizations and Config:              */
/******************************************/
/* ThreadTile= 4 x 4 */
/* SubGroup= 8 x 16 */
/* VectorWidth=4 */
/* GlobalLoadVectorWidthA=4, GlobalLoadVectorWidthB=4 */
/* DirectToLdsA=False */
/* DirectToLdsB=False */
/* UseSgprForGRO=False */
.amdgpu_metadata
---
amdhsa.version:
  - 1
  - 1
amdhsa.target: amdgcn-amd-amdhsa--gfx90a
amdhsa.kernels:
  - .name: Cijk_Alik_Bjlk_HHS_BH_GB_MT32x64x64_SN_1LDSB0_APM1_AF0EM2_AF1EM1_AMAS3_ASGT_ASLT_ASAE01_ASCE01_ASEM2_BL1_BS1_CLR0_DTLA0_DTLB0_DTVA0_DVO0_EPS1_FL0_GLVWA4_GLVWB4_GRVW4_GSU1_GSUASB_GLS0_ISA90a_IU2_K1_KLA_LBSPPA0_LBSPPB0_LPA0_LPB0_LDL2_LRVW4_LDW0_FMA_MIAV0_MMFGLC_NTA0_NTB0_NTC0_NTD0_NEPBS0_NLCA1_NLCB1_ONLL1_OPLV0_PK0_PAP0_PGR1_PLR1_SIA1_SS0_SU32_SUM0_SUS256_SCIUI1_SPO0_SRVW0_SSO0_SVW4_SNLL0_TT4_4_TLDS0_UMLDSA0_UMLDSB0_USFGRO0_VAW2_VS1_VW4_VWB4_VFLRP0_WSGRA0_WSGRB0_WG8_16_1_WGM1
    .symbol: 'Cijk_Alik_Bjlk_HHS_BH_GB_MT32x64x64_SN_1LDSB0_APM1_AF0EM2_AF1EM1_AMAS3_ASGT_ASLT_ASAE01_ASCE01_ASEM2_BL1_BS1_CLR0_DTLA0_DTLB0_DTVA0_DVO0_EPS1_FL0_GLVWA4_GLVWB4_GRVW4_GSU1_GSUASB_GLS0_ISA90a_IU2_K1_KLA_LBSPPA0_LBSPPB0_LPA0_LPB0_LDL2_LRVW4_LDW0_FMA_MIAV0_MMFGLC_NTA0_NTB0_NTC0_NTD0_NEPBS0_NLCA1_NLCB1_ONLL1_OPLV0_PK0_PAP0_PGR1_PLR1_SIA1_SS0_SU32_SUM0_SUS256_SCIUI1_SPO0_SRVW0_SSO0_SVW4_SNLL0_TT4_4_TLDS0_UMLDSA0_UMLDSB0_USFGRO0_VAW2_VS1_VW4_VWB4_VFLRP0_WSGRA0_WSGRB0_WG8_16_1_WGM1.kd'
    .language:                   OpenCL C
    .language_version:
      - 2
      - 0
    .args:
      - .name:            Tensor2dSizeA
        .size:            8
        .offset:          0
        .value_kind:      by_value
        .value_type:      u64
      - .name:            Tensor2dSizeB
        .size:            8
        .offset:          8
        .value_kind:      by_value
        .value_type:      u64
      - .name:            AddressD
        .size:            8
        .offset:          16
        .value_kind:      by_value
        .value_type:      u64
      - .name:            AddressC
        .size:            8
        .offset:          24
        .value_kind:      by_value
        .value_type:      u64
      - .name:            AddressA
        .size:            8
        .offset:          32
        .value_kind:      by_value
        .value_type:      u64
      - .name:            AddressB
        .size:            8
        .offset:          40
        .value_kind:      by_value
        .value_type:      u64
      - .name:            OffsetD
        .size:            8
        .offset:          48
        .value_kind:      by_value
        .value_type:      u64
      - .name:            OffsetC
        .size:            8
        .offset:          56
        .value_kind:      by_value
        .value_type:      u64
      - .name:            OffsetA
        .size:            8
        .offset:          64
        .value_kind:      by_value
        .value_type:      u64
      - .name:            OffsetB
        .size:            8
        .offset:          72
        .value_kind:      by_value
        .value_type:      u64
      - .name:            Alpha
        .size:            4
        .offset:          80
        .value_kind:      by_value
        .value_type:      u32
      - .name:            Beta
        .size:            4
        .offset:          84
        .value_kind:      by_value
        .value_type:      u32
      - .name:            StridesD
        .size:            8
        .offset:          88
        .value_kind:      by_value
        .value_type:      u64
      - .name:            StridesC
        .size:            8
        .offset:          96
        .value_kind:      by_value
        .value_type:      u64
      - .name:            StridesA
        .size:            8
        .offset:          104
        .value_kind:      by_value
        .value_type:      u64
      - .name:            StridesB
        .size:            8
        .offset:          112
        .value_kind:      by_value
        .value_type:      u64
      - .name:            SizesFree
        .size:            12
        .offset:          120
        .value_kind:      by_value
        .value_type:      u96
      - .name:            SizesSum
        .size:            4
        .offset:          132
        .value_kind:      by_value
        .value_type:      u32
      - .name:            OrigStaggerUIter
        .size:            4
        .offset:          136
        .value_kind:      by_value
        .value_type:      u32
      - .name:            NumWorkGroups0
        .size:            4
        .offset:          140
        .value_kind:      by_value
        .value_type:      u32
      - .name:            NumWorkGroups1
        .size:            4
        .offset:          144
        .value_kind:      by_value
        .value_type:      u32
    .group_segment_fixed_size:   28672
    .kernarg_segment_align:      8
    .kernarg_segment_size:       152
    .max_flat_workgroup_size:    128
    .private_segment_fixed_size: 0
    .sgpr_count:                 66
    .sgpr_spill_count:           0
    .vgpr_count:                 74
    .vgpr_spill_count:           0
    .wavefront_size:             64
...
.end_amdgpu_metadata
Cijk_Alik_Bjlk_HHS_BH_GB_MT32x64x64_SN_1LDSB0_APM1_AF0EM2_AF1EM1_AMAS3_ASGT_ASLT_ASAE01_ASCE01_ASEM2_BL1_BS1_CLR0_DTLA0_DTLB0_DTVA0_DVO0_EPS1_FL0_GLVWA4_GLVWB4_GRVW4_GSU1_GSUASB_GLS0_ISA90a_IU2_K1_KLA_LBSPPA0_LBSPPB0_LPA0_LPB0_LDL2_LRVW4_LDW0_FMA_MIAV0_MMFGLC_NTA0_NTB0_NTC0_NTD0_NEPBS0_NLCA1_NLCB1_ONLL1_OPLV0_PK0_PAP0_PGR1_PLR1_SIA1_SS0_SU32_SUM0_SUS256_SCIUI1_SPO0_SRVW0_SSO0_SVW4_SNLL0_TT4_4_TLDS0_UMLDSA0_UMLDSB0_USFGRO0_VAW2_VS1_VW4_VWB4_VFLRP0_WSGRA0_WSGRB0_WG8_16_1_WGM1:

/******************************************/
/* Asm syntax workarounds                 */
/******************************************/
.macro _v_add_co_u32 dst:req, cc:req, src0:req, src1:req, dpp=
   v_add_co_u32 \dst, \cc, \src0, \src1 \dpp
.endm

.macro _v_add_u32 dst:req, src0:req, src1:req, dpp=
   v_add_u32 \dst, \src0, \src1 \dpp
.endm

.macro _v_add_i32 dst:req, src0:req, src1:req, dpp=
   v_add_i32 \dst, \src0, \src1 \dpp
.endm

.macro _v_addc_co_u32 dst:req, ccOut:req, src0:req, ccIn:req, src1:req, dpp=
   v_addc_co_u32 \dst, \ccOut, \src0, \ccIn, \src1 \dpp
.endm

.macro _v_sub_co_u32 dst:req, cc:req, src0:req, src1:req, dpp=
   v_sub_co_u32 \dst, \cc, \src0, \src1 \dpp
.endm

.macro _v_sub_u32 dst:req, src0:req, src1:req, dpp=
   v_sub_u32 \dst, \src0, \src1 \dpp
.endm

.macro _v_sub_i32 dst:req, src0:req, src1:req, dpp=
   v_sub_i32 \dst, \src0, \src1 \dpp
.endm

.macro _v_add_lshl_u32 dst:req, src0:req, src1:req, shiftCnt:req
    v_add_lshl_u32 \dst, \src0, \src1, \shiftCnt
.endm

.macro _v_lshl_add_u32 dst:req, src0:req, src1:req, shiftCnt:req
    v_lshl_add_u32 \dst, \src0, \src1, \shiftCnt
.endm

.macro _v_lshl_or_b32 dst:req, src0:req, shiftCnt:req, src1:req
    v_lshl_or_b32 \dst, \src0, \shiftCnt, \src1
.endm

.macro _v_dot2acc_f32_f16 dst, src0, src1
v_dot2c_f32_f16 \dst, \src0, \src1
.endm

.macro _v_cmpx_lt_i16 dst, src0, src1=
   v_cmpx_lt_i16 \dst, \src0, \src1 
.endm

.macro _v_cmpx_lt_i32 dst, src0, src1=
   v_cmpx_lt_i32 \dst, \src0, \src1 
.endm

.macro _v_cmpx_lt_i64 dst, src0, src1=
   v_cmpx_lt_i64 \dst, \src0, \src1 
.endm

.macro _v_cmpx_lt_u16 dst, src0, src1=
   v_cmpx_lt_u16 \dst, \src0, \src1 
.endm

.macro _v_cmpx_lt_u32 dst, src0, src1=
   v_cmpx_lt_u32 \dst, \src0, \src1 
.endm

.macro _v_cmpx_lt_u64 dst, src0, src1=
   v_cmpx_lt_u64 \dst, \src0, \src1 
.endm

.macro _v_cmpx_eq_i16 dst, src0, src1=
   v_cmpx_eq_i16 \dst, \src0, \src1 
.endm

.macro _v_cmpx_eq_i32 dst, src0, src1=
   v_cmpx_eq_i32 \dst, \src0, \src1 
.endm

.macro _v_cmpx_eq_i64 dst, src0, src1=
   v_cmpx_eq_i64 \dst, \src0, \src1 
.endm

.macro _v_cmpx_eq_u16 dst, src0, src1=
   v_cmpx_eq_u16 \dst, \src0, \src1 
.endm

.macro _v_cmpx_eq_u32 dst, src0, src1=
   v_cmpx_eq_u32 \dst, \src0, \src1 
.endm

.macro _v_cmpx_eq_u64 dst, src0, src1=
   v_cmpx_eq_u64 \dst, \src0, \src1 
.endm

.macro _v_cmpx_le_i16 dst, src0, src1=
   v_cmpx_le_i16 \dst, \src0, \src1 
.endm

.macro _v_cmpx_le_i32 dst, src0, src1=
   v_cmpx_le_i32 \dst, \src0, \src1 
.endm

.macro _v_cmpx_le_i64 dst, src0, src1=
   v_cmpx_le_i64 \dst, \src0, \src1 
.endm

.macro _v_cmpx_le_u16 dst, src0, src1=
   v_cmpx_le_u16 \dst, \src0, \src1 
.endm

.macro _v_cmpx_le_u32 dst, src0, src1=
   v_cmpx_le_u32 \dst, \src0, \src1 
.endm

.macro _v_cmpx_le_u64 dst, src0, src1=
   v_cmpx_le_u64 \dst, \src0, \src1 
.endm

.macro _v_cmpx_gt_i16 dst, src0, src1=
   v_cmpx_gt_i16 \dst, \src0, \src1 
.endm

.macro _v_cmpx_gt_i32 dst, src0, src1=
   v_cmpx_gt_i32 \dst, \src0, \src1 
.endm

.macro _v_cmpx_gt_i64 dst, src0, src1=
   v_cmpx_gt_i64 \dst, \src0, \src1 
.endm

.macro _v_cmpx_gt_u16 dst, src0, src1=
   v_cmpx_gt_u16 \dst, \src0, \src1 
.endm

.macro _v_cmpx_gt_u32 dst, src0, src1=
   v_cmpx_gt_u32 \dst, \src0, \src1 
.endm

.macro _v_cmpx_gt_u64 dst, src0, src1=
   v_cmpx_gt_u64 \dst, \src0, \src1 
.endm

.macro _v_cmpx_ne_i16 dst, src0, src1=
   v_cmpx_ne_i16 \dst, \src0, \src1 
.endm

.macro _v_cmpx_ne_i32 dst, src0, src1=
   v_cmpx_ne_i32 \dst, \src0, \src1 
.endm

.macro _v_cmpx_ne_i64 dst, src0, src1=
   v_cmpx_ne_i64 \dst, \src0, \src1 
.endm

.macro _v_cmpx_ne_u16 dst, src0, src1=
   v_cmpx_ne_u16 \dst, \src0, \src1 
.endm

.macro _v_cmpx_ne_u32 dst, src0, src1=
   v_cmpx_ne_u32 \dst, \src0, \src1 
.endm

.macro _v_cmpx_ne_u64 dst, src0, src1=
   v_cmpx_ne_u64 \dst, \src0, \src1 
.endm

.macro _v_cmpx_lg_i16 dst, src0, src1=
   v_cmpx_lg_i16 \dst, \src0, \src1 
.endm

.macro _v_cmpx_lg_i32 dst, src0, src1=
   v_cmpx_lg_i32 \dst, \src0, \src1 
.endm

.macro _v_cmpx_lg_i64 dst, src0, src1=
   v_cmpx_lg_i64 \dst, \src0, \src1 
.endm

.macro _v_cmpx_lg_u16 dst, src0, src1=
   v_cmpx_lg_u16 \dst, \src0, \src1 
.endm

.macro _v_cmpx_lg_u32 dst, src0, src1=
   v_cmpx_lg_u32 \dst, \src0, \src1 
.endm

.macro _v_cmpx_lg_u64 dst, src0, src1=
   v_cmpx_lg_u64 \dst, \src0, \src1 
.endm

.macro _v_cmpx_ge_i16 dst, src0, src1=
   v_cmpx_ge_i16 \dst, \src0, \src1 
.endm

.macro _v_cmpx_ge_i32 dst, src0, src1=
   v_cmpx_ge_i32 \dst, \src0, \src1 
.endm

.macro _v_cmpx_ge_i64 dst, src0, src1=
   v_cmpx_ge_i64 \dst, \src0, \src1 
.endm

.macro _v_cmpx_ge_u16 dst, src0, src1=
   v_cmpx_ge_u16 \dst, \src0, \src1 
.endm

.macro _v_cmpx_ge_u32 dst, src0, src1=
   v_cmpx_ge_u32 \dst, \src0, \src1 
.endm

.macro _v_cmpx_ge_u64 dst, src0, src1=
   v_cmpx_ge_u64 \dst, \src0, \src1 
.endm

.macro _v_cmpx_o_i16 dst, src0, src1=
   v_cmpx_o_i16 \dst, \src0, \src1 
.endm

.macro _v_cmpx_o_i32 dst, src0, src1=
   v_cmpx_o_i32 \dst, \src0, \src1 
.endm

.macro _v_cmpx_o_i64 dst, src0, src1=
   v_cmpx_o_i64 \dst, \src0, \src1 
.endm

.macro _v_cmpx_o_u16 dst, src0, src1=
   v_cmpx_o_u16 \dst, \src0, \src1 
.endm

.macro _v_cmpx_o_u32 dst, src0, src1=
   v_cmpx_o_u32 \dst, \src0, \src1 
.endm

.macro _v_cmpx_o_u64 dst, src0, src1=
   v_cmpx_o_u64 \dst, \src0, \src1 
.endm

.macro _v_cmpx_u_i16 dst, src0, src1=
   v_cmpx_u_i16 \dst, \src0, \src1 
.endm

.macro _v_cmpx_u_i32 dst, src0, src1=
   v_cmpx_u_i32 \dst, \src0, \src1 
.endm

.macro _v_cmpx_u_i64 dst, src0, src1=
   v_cmpx_u_i64 \dst, \src0, \src1 
.endm

.macro _v_cmpx_u_u16 dst, src0, src1=
   v_cmpx_u_u16 \dst, \src0, \src1 
.endm

.macro _v_cmpx_u_u32 dst, src0, src1=
   v_cmpx_u_u32 \dst, \src0, \src1 
.endm

.macro _v_cmpx_u_u64 dst, src0, src1=
   v_cmpx_u_u64 \dst, \src0, \src1 
.endm
.macro _v_mac_f32 c:req, a:req, b:req
    v_fmac_f32 \c, \a, \b
.endmacro

/* scale global load macros */
.macro _s_load_b32 dst base offset
    s_load_dword \dst \base \offset
.endm

.macro _s_load_b64 dst base offset
    s_load_dwordx2 \dst \base \offset
.endm

.macro _s_load_b128 dst base offset
    s_load_dwordx4 \dst \base \offset
.endm

.macro _s_load_b256 dst base offset
    s_load_dwordx8 \dst \base \offset
.endm

.macro _s_load_b512 dst base offset
    s_load_dwordx16 \dst \base \offset
.endm


/* ds operation macros */
.macro _ds_load_u8 dst src offset
    ds_read_u8 \dst \src \offset
.endm

.macro _ds_load_u8_d16_hi dst src offset
    ds_read_u8_d16_hi \dst \src \offset
.endm

.macro _ds_load_u16 dst src offset
    ds_read_u16 \dst \src \offset
.endm

.macro _ds_load_u16_d16_hi dst src offset
    ds_read_u16_d16_hi \dst \src \offset
.endm

.macro _ds_load_b32 dst src offset
    ds_read_b32 \dst \src \offset
.endm

.macro _ds_load_b64 dst src offset
    ds_read_b64 \dst \src \offset
.endm

.macro _ds_load_b128 dst src offset
    ds_read_b128 \dst \src \offset
.endm

.macro _ds_store_b8 dst src offset
    ds_write_b8 \dst \src \offset
.endm

.macro _ds_store_b8_d16_hi dst src offset
    ds_write_b8_d16_hi \dst \src \offset
.endm

.macro _ds_store_b16 dst src offset
    ds_write_b16 \dst \src \offset
.endm

.macro _ds_store_b16_d16_hi dst src offset
    ds_write_b16_d16_hi \dst \src \offset
.endm

.macro _ds_store_b32 dst src offset
    ds_write_b32 \dst \src \offset
.endm

.macro _ds_store_b64 dst src offset
    ds_write_b64 \dst \src \offset
.endm

.macro _ds_store_b128 dst src offset
    ds_write_b128 \dst \src \offset
.endm

.macro _ds_load2_b32 dst src offset1 offset2
    ds_read2_b32 \dst \src \offset1 \offset2
.endm

.macro _ds_load2_b64 dst src offset1 offset2
    ds_read2_b64 \dst \src \offset1 \offset2
.endm

.macro _ds_store2_b32 dst src offset1 offset2
    ds_write2_b32 \dst \src \offset1 \offset2
.endm

.macro _ds_store2_b64 dst src offset1 offset2
    ds_write2_b64 \dst \src \offset1 \offset2
.endm


/* buffer memory operation macros */
.macro _buffer_load_b32 dst voffset base soffset offen ioffset md0 md1 md2
    buffer_load_dword \dst \voffset \base \soffset \offen \ioffset \md0 \md1 \md2
.endm

.macro _buffer_load_b64 dst voffset base soffset offen ioffset md0 md1 md2
    buffer_load_dwordx2 \dst \voffset \base \soffset \offen \ioffset \md0 \md1 \md2
.endm

.macro _buffer_load_b96 dst voffset base soffset offen ioffset md0 md1 md2
    buffer_load_dwordx3 \dst \voffset \base \soffset \offen \ioffset \md0 \md1 \md2
.endm

.macro _buffer_load_b128 dst voffset base soffset offen ioffset md0 md1 md2
    buffer_load_dwordx4 \dst \voffset \base \soffset \offen \ioffset \md0 \md1 \md2
.endm

.macro _buffer_load_d16_b16 dst voffset base soffset offen ioffset md0 md1 md2
    buffer_load_short_d16 \dst \voffset \base \soffset \offen \ioffset \md0 \md1 \md2
.endm

.macro _buffer_load_d16_hi_b16 dst voffset base soffset offen ioffset md0 md1 md2
    buffer_load_short_d16_hi \dst \voffset \base \soffset \offen \ioffset \md0 \md1 \md2
.endm

.macro _buffer_load_d16_u8 dst voffset base soffset offen ioffset md0 md1 md2
    buffer_load_ubyte_d16 \dst \voffset \base \soffset \offen \ioffset \md0 \md1 \md2
.endm

.macro _buffer_load_d16_hi_u8 dst voffset base soffset offen ioffset md0 md1 md2
    buffer_load_ubyte_d16_hi \dst \voffset \base \soffset \offen \ioffset \md0 \md1 \md2
.endm

.macro _buffer_load_u16 dst voffset base soffset offen ioffset md0 md1 md2
    buffer_load_ushort \dst \voffset \base \soffset \offen \ioffset \md0 \md1 \md2
.endm

.macro _buffer_load_b32_dtl voffset base soffset offen ioffset md0 md1 md2
    buffer_load_dword \voffset \base \soffset \offen \ioffset \md0 \md1 \md2
.endm

.macro _buffer_load_b64_dtl voffset base soffset offen ioffset md0 md1 md2
    buffer_load_dwordx2 \voffset \base \soffset \offen \ioffset \md0 \md1 \md2
.endm

.macro _buffer_load_b128_dtl voffset base soffset offen ioffset md0 md1 md2
    buffer_load_dwordx4 \voffset \base \soffset \offen \ioffset \md0 \md1 \md2
.endm

.macro _buffer_load_u16_dtl voffset base soffset offen ioffset md0 md1 md2
    buffer_load_ushort \voffset \base \soffset \offen \ioffset \md0 \md1 \md2
.endm

.macro _buffer_store_b32 src voffset base soffset offen ioffset md0 md1 md2
    buffer_store_dword \src \voffset \base \soffset \offen \ioffset \md0 \md1 \md2
.endm

.macro _buffer_store_b64 src voffset base soffset offen ioffset md0 md1 md2
    buffer_store_dwordx2 \src \voffset \base \soffset \offen \ioffset \md0 \md1 \md2
.endm

.macro _buffer_store_b96 src voffset base soffset offen ioffset md0 md1 md2
    buffer_store_dwordx3 \src \voffset \base \soffset \offen \ioffset \md0 \md1 \md2
.endm

.macro _buffer_store_b128 src voffset base soffset offen ioffset md0 md1 md2
    buffer_store_dwordx4 \src \voffset \base \soffset \offen \ioffset \md0 \md1 \md2
.endm

.macro _buffer_store_b16 src voffset base soffset offen ioffset md0 md1 md2
    buffer_store_short \src \voffset \base \soffset \offen \ioffset \md0 \md1 \md2
.endm

.macro _buffer_store_d16_hi_b16 src voffset base soffset offen ioffset md0 md1 md2
    buffer_store_short_d16_hi \src \voffset \base \soffset \offen \ioffset \md0 \md1 \md2
.endm

.macro _buffer_store_b8 src voffset base soffset offen ioffset md0 md1 md2
    buffer_store_byte \src \voffset \base \soffset \offen \ioffset \md0 \md1 \md2
.endm

.macro _buffer_store_d16_hi_b8 src voffset base soffset offen ioffset md0 md1 md2
    buffer_store_byte_d16_hi \src \voffset \base \soffset \offen \ioffset \md0 \md1 \md2
.endm

.macro _buffer_atomic_cmpswap_b32 dst voffset base soffset offen ioffset md0 md1 md2
    buffer_atomic_cmpswap \dst \voffset \base \soffset \offen \ioffset \md0 \md1 \md2
.endm

.macro _buffer_atomic_cmpswap_b64 dst voffset base soffset offen ioffset md0 md1 md2
    buffer_atomic_cmpswap_x2 \dst \voffset \base \soffset \offen \ioffset \md0 \md1 \md2
.endm


/* buffer memory operation macros */
.macro _global_load_b32 dst base src ioffset md0 md1 md2
    global_load_dword \dst \base \src \ioffset \md0 \md1 \md2
.endm

.macro _global_load_b64 dst base src ioffset md0 md1 md2
    global_load_dwordx2 \dst \base \src \ioffset \md0 \md1 \md2
.endm

.macro _global_load_b96 dst base src ioffset md0 md1 md2
    global_load_dwordx3 \dst \base \src \ioffset \md0 \md1 \md2
.endm

.macro _global_load_b128 dst base src ioffset md0 md1 md2
    global_load_dwordx4 \dst \base \src \ioffset \md0 \md1 \md2
.endm

.macro _global_load_d16_b16 dst base src ioffset md0 md1 md2
    global_load_short_d16 \dst \base \src \ioffset \md0 \md1 \md2
.endm

.macro _global_load_d16_hi_b16 dst base src ioffset md0 md1 md2
    global_load_short_d16_hi \dst \base \src \ioffset \md0 \md1 \md2
.endm

.macro _global_load_d16_u8 dst base src ioffset md0 md1 md2
    global_load_ubyte_d16 \dst \base \src \ioffset \md0 \md1 \md2
.endm

.macro _global_load_d16_hi_u8 dst base src ioffset md0 md1 md2
    global_load_ubyte_d16_hi \dst \base \src \ioffset \md0 \md1 \md2
.endm

.macro _global_load_u16 dst base src ioffset md0 md1 md2
    global_load_ushort \dst \base \src \ioffset \md0 \md1 \md2
.endm

.macro _global_store_b32 base src src2 md0 md1 md2
    global_store_dword \base \src \src2 \md0 \md1 \md2
.endm

.macro _global_store_b64 base src src2 md0 md1 md2
    global_store_dwordx2 \base \src \src2 \md0 \md1 \md2
.endm

.macro _global_store_b96 base src src2 md0 md1 md2
    global_store_dwordx3 \base \src \src2 \md0 \md1 \md2
.endm

.macro _global_store_b128 base src src2 md0 md1 md2
    global_store_dwordx4 \base \src \src2 \md0 \md1 \md2
.endm

.macro _global_store_d16_b16 base src src2 md0 md1 md2
    global_store_short \base \src \src2 \md0 \md1 \md2
.endm

.macro _global_store_d16_hi_b16 base src src2 md0 md1 md2
    global_store_short_d16_hi \base \src \src2 \md0 \md1 \md2
.endm

.macro _global_store_d16_u8 base src src2 md0 md1 md2
    global_store_ubyte_d16 \base \src \src2 \md0 \md1 \md2
.endm

.macro _global_store_d16_hi_u8 base src src2 md0 md1 md2
    global_store_ubyte_d16_hi \base \src \src2 \md0 \md1 \md2
.endm

.macro _global_store_u16 base src src2 md0 md1 md2
    global_store_ushort \base \src \src2 \md0 \md1 \md2
.endm

.macro _global_atomic_cmpswap_b32 tmp base data src ioffset md
    global_atomic_cmpswap \tmp \base \data \src \ioffset \md
.endm

.macro _global_atomic_cmpswap_b64 tmp base data src ioffset md
    global_atomic_cmpswap_x2 \tmp \base \data \src \ioffset \md
.endm


/******************************************/
/* Magic div and mod functions            */
/******************************************/
.macro V_MAGIC_DIV dstIdx:req, dividend:req, magicNumber:req, magicShift:req, magicA:req
    v_mul_hi_u32 v[\dstIdx+1], \dividend, \magicNumber
    v_mul_lo_u32 v[\dstIdx+0], \dividend, \magicA
    _v_add_u32 v[\dstIdx+0], v[\dstIdx+0], v[\dstIdx+1]
    v_lshrrev_b32 v[\dstIdx+0], \magicShift, v[\dstIdx+0]
.endm

/******************************************/
/* VGPR Assignments                       */
/******************************************/
/* ValuC range: [0-16),  */
.set vgprValuC, 0
/* ValuA/B   Xn=PLR buffer idx,  In=InnerUnroll idx */
.set vgprValuA_X0_I0, 16
.set vgprValuA_X0_I1, 18
.set vgprValuA_X1_I0, 20
.set vgprValuA_X1_I1, 22
.set vgprG2LA, 46
.set vgprValuB_X0_I0, 24
.set vgprValuB_X0_I1, 26
.set vgprValuB_X1_I0, 28
.set vgprValuB_X1_I1, 30
.set vgprG2LB, 54
.set vgprLocalWriteAddrA, 32
.set vgprLocalWriteAddrB, 33
.set vgprGlobalReadOffsetA, 34
.set vgprGlobalReadOffsetB, 38
.set vgprLocalReadAddrA, 70
.set vgprLocalReadAddrB, 71
.set vgprSerial, 72
/* Num VGPR=74 */
/* Num AccVGPR=0 */

/******************************************/
/* SGPR Assignments                       */
/******************************************/
.set sgprKernArgAddress, 0 // (2)
.set sgprWorkGroup0, 2 // (1)
.set sgprWorkGroup1, 3 // (1)
.set sgprWorkGroup2, 4 // (1)
.set sgprLoopCounterL, 5 // (1)
.set sgprOrigLoopCounter, 6 // (1)
.set sgprSrdA, 8 // (4)
.set sgprSrdB, 12 // (4)
.set sgprSrdD, 16 // (4)
.set sgprSrdC, 20 // (4)
.set sgprTensor2dSizeA, 24 // (2)
.set sgprTensor2dSizeB, 26 // (2)
.set sgprAddressD, 28 // (2)
.set sgprAddressC, 30 // (2)
.set sgprAddressA, 32 // (2)
.set sgprAddressB, 34 // (2)
.set sgprOffsetD, 36 // (2)
.set sgprOffsetC, 38 // (2)
.set sgprOffsetA, 40 // (2)
.set sgprOffsetB, 42 // (2)
.set sgprAlpha, 44 // (1)
.set sgprBeta, 45 // (1)
.set sgprStridesD, 46 // (2)
.set sgprStridesC, 48 // (2)
.set sgprStridesA, 50 // (2)
.set sgprStridesB, 52 // (2)
.set sgprSizesFree, 54 // (3)
.set sgprSizesSum, 57 // (1)
.set sgprOrigStaggerUIter, 58 // (1)
.set sgprNumWorkGroups0, 59 // (1)
.set sgprNumWorkGroups1, 60 // (1)
.set sgprShadowLimitA, 28 // (2)
.set sgprShadowLimitB, 30 // (2)
.set sgprStaggerUIter, 7 // (1)
.set sgprWrapUA, 32 // (2)
.set sgprWrapUB, 34 // (2)
.set sgprGlobalReadIncsA, 36 // (1)
.set sgprGlobalReadIncsB, 37 // (1)
/* max SGPR=66 */

/* Size Assignments */
.set sgprSizeI, sgprSizesFree+0
.set sgprSizeJ, sgprSizesFree+1
.set sgprSizeK, sgprSizesFree+2
.set sgprSizeL, sgprSizesSum+0

/* Stride Assignments */
.set constStrideD0I, 1
.set sgprStrideD1J, sgprStridesD+0
.set sgprStrideDK, sgprStridesD+1
.set constStrideC0I, 1
.set sgprStrideC1J, sgprStridesC+0
.set sgprStrideCK, sgprStridesC+1
.set constStrideAL, 1
.set sgprStrideA0I, sgprStridesA+0
.set sgprStrideAK, sgprStridesA+1
.set constStrideB1J, 1
.set sgprStrideBL, sgprStridesB+0
.set sgprStrideBK, sgprStridesB+1

.set MT0, 32
.set MT1, 64
.set DepthU, 64
.set GSU, 1
.set BpeA, 2
.set BpeALog2, 1
.set BpeB, 2
.set BpeBLog2, 1
/* Number of elements to shift-left SRD */
.set SrdShiftLeftA, 4
.set SrdShiftLeftB, 4
/* 2GB limit - set offsets to -1 to exceed this and clamp */
.set BufferLimitA, 0xffffffff
.set BufferLimitB, 0xffffffff
.set BufferOOB, 0xfffff000

/******************************************/
/* Bits 127:96 of SRD.                    */
/* hex: 0x00020000                        */
/* dst_sel_x (3b): 0                      */
/* dst_sel_y (3b): 0                      */
/* dst_sel_z (3b): 0                      */
/* dst_sel_w (3b): 0                      */
/* num_format (3b): 0                     */
/* data_format (4b): 4                    */
/* user_vm_enable (1b): 0                 */
/* user_vm_mode (1b): 0                   */
/* index_stride (2b): 0                   */
/* add_tid_enable (1b): 0                 */
/* _unusedA (3b): 0                       */
/* nv (1b): 0                             */
/* _unusedB (2b): 0                       */
/* type (2b): 0                           */
/******************************************/
.set Srd127_96, 0x00020000

/* Global Offset A */
.macro GLOBAL_OFFSET_A vgprAddr:req vgprOffsetL:req vgprOffset0I:req vgprTmp:req
v_mul_lo_u32 v[\vgprTmp+0], s[sgprStrideA0I], v[\vgprOffset0I] // mul d1 lower
_v_add_co_u32 v[\vgprAddr+0], vcc, v[\vgprOffsetL], v[\vgprTmp+0] // accumulate K lower
_v_add_u32 v[\vgprAddr+0], 0x4, v[\vgprAddr+0]     // add prepad for pointer shift
v_lshlrev_b32 v[\vgprAddr+0], 0x1, v[\vgprAddr+0]  // offset *= bytes/element
.endm

/* Global Offset B */
.macro GLOBAL_OFFSET_B vgprAddr:req vgprOffset1J:req vgprOffsetL:req vgprTmp:req
v_mul_lo_u32 v[\vgprTmp+0], s[sgprStrideBL], v[\vgprOffsetL] // mul d1 lower
_v_add_co_u32 v[\vgprAddr+0], vcc, v[\vgprOffset1J], v[\vgprTmp+0] // accumulate K lower
_v_add_u32 v[\vgprAddr+0], 0x4, v[\vgprAddr+0]     // add prepad for pointer shift
v_lshlrev_b32 v[\vgprAddr+0], 0x1, v[\vgprAddr+0]  // offset *= bytes/element
.endm

/******************************************/
/* Dynamic Scalar Divide: vQuotient=vDividend/vDivisor; vRemainder=vDividend%vDivisor; */
/******************************************/
.macro DYNAMIC_VECTOR_DIVIDE vQuotient vRemainder vDividend vDivisor vTmp0 vTmp1 sTmp
v_cvt_f32_u32 v[\vQuotient], v[\vDivisor]          // 
v_rcp_f32 v[\vQuotient], v[\vQuotient]             // 
v_mul_f32 v[\vQuotient], 0x4f800000, v[\vQuotient] // 
v_cvt_u32_f32 v[\vQuotient], v[\vQuotient]         // 
v_mul_lo_u32 v[\vRemainder], v[\vDivisor], v[\vQuotient] // 
v_mul_hi_u32 v[\vTmp0], v[\vDivisor], v[\vQuotient] // 
_v_sub_co_u32 v[\vTmp1], vcc, 0x0, v[\vRemainder]  // 
v_cmp_ne_i32 s[\sTmp:\sTmp+1], 0x0, v[\vTmp0]      // 
v_cndmask_b32 v[\vRemainder], v[\vTmp1], v[\vRemainder], s[\sTmp:\sTmp+1] // 
v_mul_hi_u32 v[\vRemainder], v[\vRemainder], v[\vQuotient] // 
_v_sub_co_u32 v[\vTmp0], vcc, v[\vQuotient], v[\vRemainder] // 
_v_add_co_u32 v[\vQuotient], vcc, v[\vQuotient], v[\vRemainder] // 
v_cndmask_b32 v[\vQuotient], v[\vQuotient], v[\vTmp0], s[\sTmp:\sTmp+1] // 
v_mul_hi_u32 v[\vQuotient], v[\vQuotient], v[\vDividend] // 
v_mul_lo_u32 v[\vRemainder], v[\vQuotient], v[\vDivisor] // 
_v_sub_co_u32 v[\vTmp0], vcc, v[\vDividend], v[\vRemainder] // 
v_cmp_ge_u32 s[\sTmp:\sTmp+1], v[\vDividend], v[\vRemainder] // 
_v_add_co_u32 v[\vRemainder], vcc, 0x1, v[\vQuotient] // 
_v_add_co_u32 v[\vTmp1], vcc, -1, v[\vQuotient]    // 
v_cmp_le_u32 vcc, v[\vDivisor], v[\vTmp0]          // 
s_and_b64 vcc, s[\sTmp:\sTmp+1], vcc               // 
v_cndmask_b32 v[\vQuotient], v[\vQuotient], v[\vRemainder], vcc // 
v_cndmask_b32 v[\vQuotient], v[\vTmp1], v[\vQuotient], s[\sTmp:\sTmp+1] // 
v_cmp_ne_i32 vcc, 0x0, v[\vDivisor]                // 
v_cndmask_b32 v[\vQuotient], -1, v[\vQuotient], vcc // final result
v_mul_lo_u32 v[\vRemainder], v[\vQuotient], v[\vDivisor] // 
_v_sub_co_u32 v[\vRemainder], vcc, v[\vDividend], v[\vRemainder] // final result
.endm

/******************************************/
/* 4x4 thread-tile                        */
/******************************************/
.macro MAC_4x4_X0
// Component.MAC.FMA_F16_DOT2
_v_dot2acc_f32_f16 v[vgprValuC + 0*2 + 0*4*2 + 0*2 + 0], v[vgprValuA_X0_I0+0], v[vgprValuB_X0_I0+0] //ValuC[0]
s_setprio 1 // Raise priority while processing macs
_v_dot2acc_f32_f16 v[vgprValuC + 0*2 + 0*4*2 + 0*2 + 1], v[vgprValuA_X0_I1+0], v[vgprValuB_X0_I0+0] //ValuC[1]
_v_dot2acc_f32_f16 v[vgprValuC + 0*2 + 0*4*2 + 2*2 + 0], v[vgprValuA_X0_I0+0], v[vgprValuB_X0_I1+0] //ValuC[4]
_v_dot2acc_f32_f16 v[vgprValuC + 0*2 + 0*4*2 + 2*2 + 1], v[vgprValuA_X0_I1+0], v[vgprValuB_X0_I1+0] //ValuC[5]
_v_dot2acc_f32_f16 v[vgprValuC + 1*2 + 0*4*2 + 0*2 + 0], v[vgprValuA_X0_I0+1], v[vgprValuB_X0_I0+0] //ValuC[2]
_v_dot2acc_f32_f16 v[vgprValuC + 1*2 + 0*4*2 + 0*2 + 1], v[vgprValuA_X0_I1+1], v[vgprValuB_X0_I0+0] //ValuC[3]
_v_dot2acc_f32_f16 v[vgprValuC + 1*2 + 0*4*2 + 2*2 + 0], v[vgprValuA_X0_I0+1], v[vgprValuB_X0_I1+0] //ValuC[6]
_v_dot2acc_f32_f16 v[vgprValuC + 1*2 + 0*4*2 + 2*2 + 1], v[vgprValuA_X0_I1+1], v[vgprValuB_X0_I1+0] //ValuC[7]
_v_dot2acc_f32_f16 v[vgprValuC + 0*2 + 1*4*2 + 0*2 + 0], v[vgprValuA_X0_I0+0], v[vgprValuB_X0_I0+1] //ValuC[8]
	;; [unrolled: 4-line block ×3, first 2 shown]
_v_dot2acc_f32_f16 v[vgprValuC + 1*2 + 1*4*2 + 0*2 + 1], v[vgprValuA_X0_I1+1], v[vgprValuB_X0_I0+1] //ValuC[11]
_v_dot2acc_f32_f16 v[vgprValuC + 1*2 + 1*4*2 + 2*2 + 0], v[vgprValuA_X0_I0+1], v[vgprValuB_X0_I1+1] //ValuC[14]
_v_dot2acc_f32_f16 v[vgprValuC + 1*2 + 1*4*2 + 2*2 + 1], v[vgprValuA_X0_I1+1], v[vgprValuB_X0_I1+1] //ValuC[15]
s_setprio 0 // Reset priority after macs
.endm
.macro MAC_4x4_X1
// Component.MAC.FMA_F16_DOT2
_v_dot2acc_f32_f16 v[vgprValuC + 0*2 + 0*4*2 + 0*2 + 0], v[vgprValuA_X1_I0+0], v[vgprValuB_X1_I0+0] //ValuC[0]
s_setprio 1 // Raise priority while processing macs
_v_dot2acc_f32_f16 v[vgprValuC + 0*2 + 0*4*2 + 0*2 + 1], v[vgprValuA_X1_I1+0], v[vgprValuB_X1_I0+0] //ValuC[1]
_v_dot2acc_f32_f16 v[vgprValuC + 0*2 + 0*4*2 + 2*2 + 0], v[vgprValuA_X1_I0+0], v[vgprValuB_X1_I1+0] //ValuC[4]
_v_dot2acc_f32_f16 v[vgprValuC + 0*2 + 0*4*2 + 2*2 + 1], v[vgprValuA_X1_I1+0], v[vgprValuB_X1_I1+0] //ValuC[5]
_v_dot2acc_f32_f16 v[vgprValuC + 1*2 + 0*4*2 + 0*2 + 0], v[vgprValuA_X1_I0+1], v[vgprValuB_X1_I0+0] //ValuC[2]
_v_dot2acc_f32_f16 v[vgprValuC + 1*2 + 0*4*2 + 0*2 + 1], v[vgprValuA_X1_I1+1], v[vgprValuB_X1_I0+0] //ValuC[3]
_v_dot2acc_f32_f16 v[vgprValuC + 1*2 + 0*4*2 + 2*2 + 0], v[vgprValuA_X1_I0+1], v[vgprValuB_X1_I1+0] //ValuC[6]
_v_dot2acc_f32_f16 v[vgprValuC + 1*2 + 0*4*2 + 2*2 + 1], v[vgprValuA_X1_I1+1], v[vgprValuB_X1_I1+0] //ValuC[7]
_v_dot2acc_f32_f16 v[vgprValuC + 0*2 + 1*4*2 + 0*2 + 0], v[vgprValuA_X1_I0+0], v[vgprValuB_X1_I0+1] //ValuC[8]
	;; [unrolled: 4-line block ×3, first 2 shown]
_v_dot2acc_f32_f16 v[vgprValuC + 1*2 + 1*4*2 + 0*2 + 1], v[vgprValuA_X1_I1+1], v[vgprValuB_X1_I0+1] //ValuC[11]
_v_dot2acc_f32_f16 v[vgprValuC + 1*2 + 1*4*2 + 2*2 + 0], v[vgprValuA_X1_I0+1], v[vgprValuB_X1_I1+1] //ValuC[14]
_v_dot2acc_f32_f16 v[vgprValuC + 1*2 + 1*4*2 + 2*2 + 1], v[vgprValuA_X1_I1+1], v[vgprValuB_X1_I1+1] //ValuC[15]
s_setprio 0 // Reset priority after macs
.endm

/******************************************/
/* 4x4 thread-tile                        */
/******************************************/
.macro MAC_4x4_X0_OneIUI
// Component.MAC.FMA_F16_DOT2
_v_dot2acc_f32_f16 v[vgprValuC + 0*2 + 0*4*2 + 0*2 + 0], v[vgprValuA_X0_I0+0], v[vgprValuB_X0_I0+0] //ValuC[0]
s_setprio 1 // Raise priority while processing macs
_v_dot2acc_f32_f16 v[vgprValuC + 0*2 + 0*4*2 + 0*2 + 1], v[vgprValuA_X0_I1+0], v[vgprValuB_X0_I0+0] //ValuC[1]
_v_dot2acc_f32_f16 v[vgprValuC + 0*2 + 0*4*2 + 2*2 + 0], v[vgprValuA_X0_I0+0], v[vgprValuB_X0_I1+0] //ValuC[4]
_v_dot2acc_f32_f16 v[vgprValuC + 0*2 + 0*4*2 + 2*2 + 1], v[vgprValuA_X0_I1+0], v[vgprValuB_X0_I1+0] //ValuC[5]
_v_dot2acc_f32_f16 v[vgprValuC + 1*2 + 0*4*2 + 0*2 + 0], v[vgprValuA_X0_I0+1], v[vgprValuB_X0_I0+0] //ValuC[2]
_v_dot2acc_f32_f16 v[vgprValuC + 1*2 + 0*4*2 + 0*2 + 1], v[vgprValuA_X0_I1+1], v[vgprValuB_X0_I0+0] //ValuC[3]
_v_dot2acc_f32_f16 v[vgprValuC + 1*2 + 0*4*2 + 2*2 + 0], v[vgprValuA_X0_I0+1], v[vgprValuB_X0_I1+0] //ValuC[6]
_v_dot2acc_f32_f16 v[vgprValuC + 1*2 + 0*4*2 + 2*2 + 1], v[vgprValuA_X0_I1+1], v[vgprValuB_X0_I1+0] //ValuC[7]
_v_dot2acc_f32_f16 v[vgprValuC + 0*2 + 1*4*2 + 0*2 + 0], v[vgprValuA_X0_I0+0], v[vgprValuB_X0_I0+1] //ValuC[8]
	;; [unrolled: 4-line block ×3, first 2 shown]
_v_dot2acc_f32_f16 v[vgprValuC + 1*2 + 1*4*2 + 0*2 + 1], v[vgprValuA_X0_I1+1], v[vgprValuB_X0_I0+1] //ValuC[11]
_v_dot2acc_f32_f16 v[vgprValuC + 1*2 + 1*4*2 + 2*2 + 0], v[vgprValuA_X0_I0+1], v[vgprValuB_X0_I1+1] //ValuC[14]
_v_dot2acc_f32_f16 v[vgprValuC + 1*2 + 1*4*2 + 2*2 + 1], v[vgprValuA_X0_I1+1], v[vgprValuB_X0_I1+1] //ValuC[15]
s_setprio 0 // Reset priority after macs
.endm
.macro MAC_4x4_X1_OneIUI
// Component.MAC.FMA_F16_DOT2
_v_dot2acc_f32_f16 v[vgprValuC + 0*2 + 0*4*2 + 0*2 + 0], v[vgprValuA_X1_I0+0], v[vgprValuB_X1_I0+0] //ValuC[0]
s_setprio 1 // Raise priority while processing macs
_v_dot2acc_f32_f16 v[vgprValuC + 0*2 + 0*4*2 + 0*2 + 1], v[vgprValuA_X1_I1+0], v[vgprValuB_X1_I0+0] //ValuC[1]
_v_dot2acc_f32_f16 v[vgprValuC + 0*2 + 0*4*2 + 2*2 + 0], v[vgprValuA_X1_I0+0], v[vgprValuB_X1_I1+0] //ValuC[4]
_v_dot2acc_f32_f16 v[vgprValuC + 0*2 + 0*4*2 + 2*2 + 1], v[vgprValuA_X1_I1+0], v[vgprValuB_X1_I1+0] //ValuC[5]
_v_dot2acc_f32_f16 v[vgprValuC + 1*2 + 0*4*2 + 0*2 + 0], v[vgprValuA_X1_I0+1], v[vgprValuB_X1_I0+0] //ValuC[2]
_v_dot2acc_f32_f16 v[vgprValuC + 1*2 + 0*4*2 + 0*2 + 1], v[vgprValuA_X1_I1+1], v[vgprValuB_X1_I0+0] //ValuC[3]
_v_dot2acc_f32_f16 v[vgprValuC + 1*2 + 0*4*2 + 2*2 + 0], v[vgprValuA_X1_I0+1], v[vgprValuB_X1_I1+0] //ValuC[6]
_v_dot2acc_f32_f16 v[vgprValuC + 1*2 + 0*4*2 + 2*2 + 1], v[vgprValuA_X1_I1+1], v[vgprValuB_X1_I1+0] //ValuC[7]
_v_dot2acc_f32_f16 v[vgprValuC + 0*2 + 1*4*2 + 0*2 + 0], v[vgprValuA_X1_I0+0], v[vgprValuB_X1_I0+1] //ValuC[8]
	;; [unrolled: 4-line block ×3, first 2 shown]
_v_dot2acc_f32_f16 v[vgprValuC + 1*2 + 1*4*2 + 0*2 + 1], v[vgprValuA_X1_I1+1], v[vgprValuB_X1_I0+1] //ValuC[11]
_v_dot2acc_f32_f16 v[vgprValuC + 1*2 + 1*4*2 + 2*2 + 0], v[vgprValuA_X1_I0+1], v[vgprValuB_X1_I1+1] //ValuC[14]
_v_dot2acc_f32_f16 v[vgprValuC + 1*2 + 1*4*2 + 2*2 + 1], v[vgprValuA_X1_I1+1], v[vgprValuB_X1_I1+1] //ValuC[15]
s_setprio 0 // Reset priority after macs
.endm


	;; [unrolled: 1-line block ×3, first 2 shown]
/******************************************/
/* Allocate Resources                     */
/******************************************/

Cijk_Alik_Bjlk_HHS_BH_GB_MT32x64x64_SN_1LDSB0_APM1_AF0EM2_AF1EM1_AMAS3_ASGT_ASLT_ASAE01_ASCE01_ASEM2_BL1_BS1_CLR0_DTLA0_DTLB0_DTVA0_DVO0_EPS1_FL0_GLVWA4_GLVWB4_GRVW4_GSU1_GSUASB_GLS0_ISA90a_IU2_K1_KLA_LBSPPA0_LBSPPB0_LPA0_LPB0_LDL2_LRVW4_LDW0_FMA_MIAV0_MMFGLC_NTA0_NTB0_NTC0_NTD0_NEPBS0_NLCA1_NLCB1_ONLL1_OPLV0_PK0_PAP0_PGR1_PLR1_SIA1_SS0_SU32_SUM0_SUS256_SCIUI1_SPO0_SRVW0_SSO0_SVW4_SNLL0_TT4_4_TLDS0_UMLDSA0_UMLDSB0_USFGRO0_VAW2_VS1_VW4_VWB4_VFLRP0_WSGRA0_WSGRB0_WG8_16_1_WGM1_preloaded: // Kernel start when preloading

/* Load Kernel Args */
_s_load_b512 s[24:39], s[sgprKernArgAddress:sgprKernArgAddress+1], 0x0 // 
_s_load_b512 s[40:55], s[sgprKernArgAddress:sgprKernArgAddress+1], 0x40 // 
_s_load_b128 s[56:59], s[sgprKernArgAddress:sgprKernArgAddress+1], 0x80 // 
_s_load_b32 s60, s[sgprKernArgAddress:sgprKernArgAddress+1], 0x90 // 
s_mov_b32 m0, 0x7000                               // LDS clamp at 28672 bytes
v_mov_b32 v[vgprSerial], v0                        // thread serial id

/******************************************/
/* Local Read Addresses                   */
/******************************************/


/* local read addresses: tile assignments a/b */

/*lr0I = serial % SG0I*/
v_lshrrev_b32 v0, 3, v[vgprSerial]                 // v0 = v[vgprSerial] / 8
v_and_b32 v1, 7, v[vgprSerial]                     // v1 = v[vgprSerial] % 8
/*lr1J = (serial / SG1J) % SG1J*/
v_lshrrev_b32 v2, 4, v0                            // v2 = v0 / 16
v_and_b32 v3, 15, v0                               // v3 = v0 % 16


/* local read addresses: final offsets a */

v_lshrrev_b32 v0, 7, v[vgprSerial]                 // LSU offset: sgid = Serial / subGroup(128)
v_lshlrev_b32 v0, 0x5, v0                          // LSU offset: lsuoffset = sgid*(MT0+PAD)
v_lshlrev_b32 v1, 0x2, v1                          // Final Offset: lrAOffset * VW
_v_add_lshl_u32 v[vgprLocalReadAddrA], v0, v1, 0x1 // Final Offset: offset = (lro0*VW+lsuoffset)*bpe


/* local read addresses: final offsets b */

v_lshrrev_b32 v0, 7, v[vgprSerial]                 // LSU offset: sgid = Serial / subGroup(128)
v_lshlrev_b32 v0, 0x6, v0                          // LSU offset: lsuoffset = sgid*(MT1+PAD)
v_lshlrev_b32 v3, 0x2, v3                          // Final Offset: lrBOffset * VW
_v_add_lshl_u32 v[vgprLocalReadAddrB], v0, v3, 0x1 // Final Offset: offset = (lro1*VW+lsuoffset)*bpe


/* local read addresses: declare addresses a */

/* N/A */


/* local read addresses: declare addresses b */

_v_add_co_u32 v[vgprLocalReadAddrB+0], vcc, 0x1000, v[vgprLocalReadAddrB+0] //  += LdsOffsetB (lower)


/* global read addresses: tile offset assignment a */

/* LVCA = 16 */
/* v0 = (local)groA-tile = serial/LVCA (note (wgA*MTA) will be added to SRD) */
/* v1 = groA-unroll = serial%LVCA */
v_lshrrev_b32 v0, 4, v[vgprSerial]                 // v0 = v[vgprSerial] / 16
v_and_b32 v1, 15, v[vgprSerial]                    // v1 = v[vgprSerial] % 16
/* gro-unroll *= glvw */
v_lshlrev_b32 v1, 0x2, v1                          // v1 = v1 * 4


/* global read addresses: tile offset assignment b */

/* LVCB = 16 */
/* v2 = (local)groB-tile = serial%LVCB (note (wgB*MTB) will be added to SRD) */
/* v3 = groB-unroll = serial/LVCB */
v_lshrrev_b32 v3, 4, v[vgprSerial]                 // v3 = v[vgprSerial] / 16
v_and_b32 v2, 15, v[vgprSerial]                    // v2 = v[vgprSerial] % 16
/* gro-tile *= glvw */
v_lshlrev_b32 v2, 0x2, v2                          // v2 = v2 * 4


/******************************************/
/* Local Write Addresses                  */
/******************************************/

/* lwaTileAssignmentA = v0 */

/* lwaTileAssignmentB = v2 */

/* lwaUnrollAssignmentA = v1 */

/* lwaUnrollAssignmentB = v3 */


/* local write addresses: first offset a */

v_and_b32 v[vgprLocalWriteAddrA], -2, v0           // lwoT & ~((LDL-1))
v_and_b32 v5, 1, v1                                // uReg & (LDL-1))
v_and_b32 v6, -2, v1                               // uReg & (LDL-1))
v_and_b32 v4, 1, v0                                // lwoT & (LDL-1))
_v_lshl_add_u32 v6, v4, 0, v6                      // shift scrap by LDL
v_mul_u32_u24 v6, 0x20, v6                         // lwAL**(MTA + PAD)
_v_add_co_u32 v6, vcc, v5, v6                      // add scraps from LDL masking
_v_add_lshl_u32 v[vgprLocalWriteAddrA], v6, v[vgprLocalWriteAddrA], 0x1 //  *= bpe


/* local write addresses: first offset b */

v_and_b32 v[vgprLocalWriteAddrB], -2, v2           // lwoT & ~((LDL-1))
v_and_b32 v5, 1, v3                                // uReg & (LDL-1))
v_and_b32 v6, -2, v3                               // uReg & (LDL-1))
v_and_b32 v4, 1, v2                                // lwoT & (LDL-1))
_v_lshl_add_u32 v6, v4, 0, v6                      // shift scrap by LDL
v_mul_u32_u24 v6, 0x40, v6                         // lwBL**(MTB + PAD)
_v_add_co_u32 v6, vcc, v5, v6                      // add scraps from LDL masking
_v_add_lshl_u32 v[vgprLocalWriteAddrB], v6, v[vgprLocalWriteAddrB], 0x1 //  *= bpe
_v_add_co_u32 v[vgprLocalWriteAddrB], vcc, 0x1000, v[vgprLocalWriteAddrB] // lwFOB = lwB1J + lwBL*MT1J + LDS_OFFSET_B=2048*2


	;; [unrolled: 1-line block ×7, first 2 shown]
s_waitcnt lgkmcnt(0)                               // wait for 148 bytes of kern args

s_mul_i32 s64, s[sgprWorkGroup2], 8                // offset of global buffer address
_s_load_b64 s[sgprAddressD:sgprAddressD+1], s[sgprAddressD:sgprAddressD+1], s64 // load global buffer D address
v_cmp_eq_f32 vcc, s[sgprBeta], 0.0                 // Beta == 0.0f ?
s_cbranch_vccnz label_skip_c_buffer_deref_WorkGroup2_10 // branch if beta == 0
s_mul_i32 s64, s[sgprWorkGroup2], 8                // offset of global buffer address
_s_load_b64 s[sgprAddressC:sgprAddressC+1], s[sgprAddressC:sgprAddressC+1], s64 // load global buffer C address
label_skip_c_buffer_deref_WorkGroup2_10: // 
s_mov_b32 s64, 0x1                                 // check summation size
s_mul_i32 s64, s[sgprSizesSum+0], s64              // check summation size
s_cmp_eq_u32 s64, 0x0                              // skip buffer deref is size of summation is 0
s_cbranch_scc1 label_skip_ab_buffer_deref_WorkGroup2_11 // skip buffer deref is size of summation is 0
v_cmp_eq_f32 vcc, s[sgprAlpha], 0.0                // Alpha == 0.0f ?
s_cbranch_vccnz label_skip_ab_buffer_deref_WorkGroup2_11 // branch if alpha == 0
s_mul_i32 s64, s[sgprWorkGroup2], 8                // offset of global buffer address
_s_load_b64 s[sgprAddressA:sgprAddressA+1], s[sgprAddressA:sgprAddressA+1], s64 // load global buffer A address
_s_load_b64 s[sgprAddressB:sgprAddressB+1], s[sgprAddressB:sgprAddressB+1], s64 // load global buffer B address
label_skip_ab_buffer_deref_WorkGroup2_11: // 
s_waitcnt lgkmcnt(0)                               // wait global buffer address ready
s_lshl_b64 s[sgprOffsetD:sgprOffsetD+1], s[sgprOffsetD:sgprOffsetD+1], 0x1 // elements offset to bytes offset
s_add_u32 s[sgprSrdD+0], s[sgprAddressD+0], s[sgprOffsetD] // add offset to buffer address
s_addc_u32 s[sgprSrdD+1], s[sgprAddressD+1], s[sgprOffsetD+1] // add offset to buffer address
s_lshl_b64 s[sgprOffsetC:sgprOffsetC+1], s[sgprOffsetC:sgprOffsetC+1], 0x1 // elements offset to bytes offset
s_add_u32 s[sgprSrdC+0], s[sgprAddressC+0], s[sgprOffsetC] // add offset to buffer address
s_addc_u32 s[sgprSrdC+1], s[sgprAddressC+1], s[sgprOffsetC+1] // add offset to buffer address
s_lshl_b64 s[sgprOffsetA:sgprOffsetA+1], s[sgprOffsetA:sgprOffsetA+1], 0x1 // elements offset to bytes offset
s_add_u32 s[sgprSrdA+0], s[sgprAddressA+0], s[sgprOffsetA] // add offset to buffer address
s_addc_u32 s[sgprSrdA+1], s[sgprAddressA+1], s[sgprOffsetA+1] // add offset to buffer address
s_lshl_b64 s[sgprOffsetB:sgprOffsetB+1], s[sgprOffsetB:sgprOffsetB+1], 0x1 // elements offset to bytes offset
s_add_u32 s[sgprSrdB+0], s[sgprAddressB+0], s[sgprOffsetB] // add offset to buffer address
s_addc_u32 s[sgprSrdB+1], s[sgprAddressB+1], s[sgprOffsetB+1] // add offset to buffer address
s_sub_u32 s[sgprSrdA+0], s[sgprSrdA+0], 8          // pre-pad to make room for possible pointer shift
s_subb_u32 s[sgprSrdA+1], s[sgprSrdA+1], 0         // pre-pad to make room for possible pointer shift
s_sub_u32 s[sgprSrdB+0], s[sgprSrdB+0], 8          // pre-pad to make room for possible pointer shift
s_subb_u32 s[sgprSrdB+1], s[sgprSrdB+1], 0         // pre-pad to make room for possible pointer shift

.set OffsetD, UNDEF
.set OffsetC, UNDEF
.set OffsetA, UNDEF
.set OffsetB, UNDEF
.set AddressD, UNDEF
.set AddressC, UNDEF
.set AddressA, UNDEF
.set AddressB, UNDEF

/* Short circuit condition if Alpha == 0, then sumDims=0 */
v_cmp_eq_f32 vcc, s[sgprAlpha], 0.0                // Alpha == 0.0f ?
s_cbranch_vccz label_AlphaNonZero                  // branch if alpha != 0
s_mov_b32 s[sgprSizesSum+0], 0x0                   // Set summation dim=0 if Alpha == 0
label_AlphaNonZero:


	;; [unrolled: 1-line block ×3, first 2 shown]
/******************************************/
/* Begin setupNewTile, isPap=False           */
/******************************************/


/* global read addresses: work-group */

/* graWorkGroup mapping */


/* global read addresses: unroll assignment a */

/* v1 */


/* global read addresses: unroll assignment b */

/* v3 */


/* global read addresses: other free assignments */

/* s[sgprWorkGroup2] */


/* global read addresses: tile offsets a */

v_mov_b32 v4, v0                                   // groA0I_0
_v_add_co_u32 v5, vcc, 8, v4                       // groA0I_1 += LSPA
_v_add_co_u32 v6, vcc, 8, v5                       // groA0I_2 += LSPA
_v_add_co_u32 v7, vcc, 8, v6                       // groA0I_3 += LSPA


/* global read addresses: tile offsets b */

v_mov_b32 v8, v2                                   // groB1J_0


/* global read addresses: unroll offsets a */

v_mov_b32 v9, v1                                   // groAL_0


/* global read addresses: unroll offsets b */

v_mov_b32 v10, v3                                  // groBL_0
_v_add_co_u32 v11, vcc, 8, v10                     // groBL_1 + LSPB
_v_add_co_u32 v12, vcc, 8, v11                     // groBL_2 + LSPB
_v_add_co_u32 v13, vcc, 8, v12                     // groBL_3 + LSPB
_v_add_co_u32 v14, vcc, 8, v13                     // groBL_4 + LSPB
_v_add_co_u32 v15, vcc, 8, v14                     // groBL_5 + LSPB
_v_add_co_u32 v16, vcc, 8, v15                     // groBL_6 + LSPB
_v_add_co_u32 v17, vcc, 8, v16                     // groBL_7 + LSPB


/* global read addresses: shift b */

s_mul_i32 s38, s[sgprWorkGroup1], 64               // WorkGroup[01] * MT
s_sub_u32 s38, s[sgprSizeJ], s38                   // edge = Size1J - WG*MT
s_sub_u32 s38, s38, 4                              // edge -= margin(4)
v_mov_b32 v18, s38                                 // edge vgpr = Size1J- WG*MT - margin(4)
v_min_i32 v8, v18, v8                              // offset = (offset < edge) ? offset(v8) : edge(v18)


/* global read addresses: final offsets a */

GLOBAL_OFFSET_A vgprGlobalReadOffsetA+0,  9,  4, 18 // gROA_0_0_0_0
GLOBAL_OFFSET_A vgprGlobalReadOffsetA+1,  9,  5, 18 // gROA_0_0_1_0
GLOBAL_OFFSET_A vgprGlobalReadOffsetA+2,  9,  6, 18 // gROA_0_0_2_0
GLOBAL_OFFSET_A vgprGlobalReadOffsetA+3,  9,  7, 18 // gROA_0_0_3_0


/* global read addresses: final offsets b */

GLOBAL_OFFSET_B vgprGlobalReadOffsetB+0,  8, 10, 4 // gROB_0_0_0_0
GLOBAL_OFFSET_B vgprGlobalReadOffsetB+1,  8, 11, 4 // gROB_0_0_1_0
GLOBAL_OFFSET_B vgprGlobalReadOffsetB+2,  8, 12, 4 // gROB_0_0_2_0
GLOBAL_OFFSET_B vgprGlobalReadOffsetB+3,  8, 13, 4 // gROB_0_0_3_0
GLOBAL_OFFSET_B vgprGlobalReadOffsetB+4,  8, 14, 4 // gROB_0_0_4_0
GLOBAL_OFFSET_B vgprGlobalReadOffsetB+5,  8, 15, 4 // gROB_0_0_5_0
GLOBAL_OFFSET_B vgprGlobalReadOffsetB+6,  8, 16, 4 // gROB_0_0_6_0
GLOBAL_OFFSET_B vgprGlobalReadOffsetB+7,  8, 17, 4 // gROB_0_0_7_0


/* global read addresses: addresses a */

/* max read offset = size[n] * stride[n-1] */
s_mul_hi_u32 s41, s[sgprWorkGroup0], 32            // WorkGroup[01] * MT
s_mul_i32 s40, s[sgprWorkGroup0], 32               // WorkGroup[01] * MT
s_mul_hi_u32 s41, s40, s[sgprStrideA0I]            // tlu=0, scaled tile-offset by stride
s_mul_i32 s40, s40, s[sgprStrideA0I]               // tlu=0, scaled tile-offset by stride
s_sub_u32 s[sgprShadowLimitA+0], s[sgprTensor2dSizeA], s40 // sub tileStart
s_subb_u32 s[sgprShadowLimitA+1], s[sgprTensor2dSizeA+1], s41 // sub tileStart
s_lshl_b64 s[sgprShadowLimitA:sgprShadowLimitA+1], s[sgprShadowLimitA:sgprShadowLimitA+1], 0x1 // Set limit to use bytes
s_add_u32 s[sgprShadowLimitA+0], s[sgprShadowLimitA+0], 8 // extend limit for pre-pad
s_addc_u32 s[sgprShadowLimitA+1], s[sgprShadowLimitA+1], 0 // extend limit for pre-pad
s_cmp_eq_u32 s[sgprShadowLimitA+1], 0              // are we within 2^32?
s_cselect_b32 s[sgprSrdA+2], s[sgprShadowLimitA+0], BufferLimitA // Move shadow to real if we are within 2^32
s_lshl_b64 s[40:41], s[40:41], 0x1                 // tileStart *= BPE
s_add_u32 s[sgprSrdA+0], s[sgprSrdA+0], s40        // SRD base = Address+ tileStart0
s_addc_u32 s[sgprSrdA+1], s[sgprSrdA+1], s41       // SRD base = Address+ tileStart1
s_mov_b32 s[sgprSrdA+3], Srd127_96                 // Set bits 127_96 in SRD


/* global read addresses: addresses b */

/* max read offset = size[n] * stride[n-1] */
s_mul_hi_u32 s41, s[sgprWorkGroup1], 64            // WorkGroup[01] * MT
s_mul_i32 s40, s[sgprWorkGroup1], 64               // WorkGroup[01] * MT
s_sub_u32 s[sgprShadowLimitB+0], s[sgprTensor2dSizeB], s40 // sub tileStart
s_subb_u32 s[sgprShadowLimitB+1], s[sgprTensor2dSizeB+1], s41 // sub tileStart
s_lshl_b64 s[sgprShadowLimitB:sgprShadowLimitB+1], s[sgprShadowLimitB:sgprShadowLimitB+1], 0x1 // Set limit to use bytes
s_add_u32 s[sgprShadowLimitB+0], s[sgprShadowLimitB+0], 8 // extend limit for pre-pad
s_addc_u32 s[sgprShadowLimitB+1], s[sgprShadowLimitB+1], 0 // extend limit for pre-pad
s_cmp_eq_u32 s[sgprShadowLimitB+1], 0              // are we within 2^32?
s_cselect_b32 s[sgprSrdB+2], s[sgprShadowLimitB+0], BufferLimitB // Move shadow to real if we are within 2^32
s_lshl_b64 s[40:41], s[40:41], 0x1                 // tileStart *= BPE
s_add_u32 s[sgprSrdB+0], s[sgprSrdB+0], s40        // SRD base = Address+ tileStart0
s_addc_u32 s[sgprSrdB+1], s[sgprSrdB+1], s41       // SRD base = Address+ tileStart1
s_mov_b32 s[sgprSrdB+3], Srd127_96                 // Set bits 127_96 in SRD


/* global read addresses: increments a */

s_mov_b32 s[sgprGlobalReadIncsA+0], DepthU*BpeA    // incrA (unrollIdx)


/* global read addresses: increments b */

s_mul_i32 s[sgprGlobalReadIncsB+0], DepthU*BpeB, s[sgprStrideBL] // incrB unrollIdx)

/* declare loop num iterations */


s_lshr_b32 s[sgprLoopCounterL], s[sgprSizesSum+0], 6 // s[sgprLoopCounterL] = s[sgprSizesSum+0] / 64
s_mov_b32 s[sgprOrigLoopCounter], s[sgprLoopCounterL] // copy loop counter

s_and_b32 s[sgprStaggerUIter], s[sgprOrigStaggerUIter], s[sgprWorkGroup0] // Compute actual stagger start for this tile
s_lshl_b32 s[sgprStaggerUIter], s[sgprStaggerUIter], 1 // shift by StaggerUStride


/* SRDs += (StaggerUIter) * GlobalReadIncsA+0 */
s_mul_hi_u32 s39, s[sgprStaggerUIter], s[sgprGlobalReadIncsA+0] //  stagger byte offset
s_mul_i32 s38, s[sgprStaggerUIter], s[sgprGlobalReadIncsA+0] //  stagger byte offset
s_mul_hi_u32 s[sgprWrapUA+1], s[sgprLoopCounterL], s[sgprGlobalReadIncsA+0] // Number of bytes accessed by the unroll loop
s_mul_i32 s[sgprWrapUA+0], s[sgprLoopCounterL], s[sgprGlobalReadIncsA+0] // Number of bytes accessed by the unroll loop
s_sub_u32 s[sgprWrapUA+0], s[sgprGlobalReadIncsA+0], s[sgprWrapUA+0] // remove one iteration
s_subb_u32 s[sgprWrapUA+1], 0, s[sgprWrapUA+1]     // remove one iteration
s_add_u32 s[sgprSrdA+0], s[sgprSrdA+0], s38        // gra SRD += inc(lower)
s_addc_u32  s[sgprSrdA+1], s[sgprSrdA+1], s39      // gra SRD += inc(upper)
s_sub_u32 s[sgprShadowLimitA+0], s[sgprShadowLimitA+0], s38 // limit -= inc)
s_subb_u32 s[sgprShadowLimitA+1], s[sgprShadowLimitA+1], s39 // limit -= inc)
s_cmp_eq_u32 s[sgprShadowLimitA+1], 0              // are we within 2^32?
s_cselect_b32 s[sgprSrdA+2], s[sgprShadowLimitA+0], BufferLimitA // Move shadow to real if we are within 2^32


/* SRDs += (StaggerUIter) * GlobalReadIncsB+0 */
s_mul_hi_u32 s39, s[sgprStaggerUIter], s[sgprGlobalReadIncsB+0] //  stagger byte offset
s_mul_i32 s38, s[sgprStaggerUIter], s[sgprGlobalReadIncsB+0] //  stagger byte offset
s_mul_hi_u32 s[sgprWrapUB+1], s[sgprLoopCounterL], s[sgprGlobalReadIncsB+0] // Number of bytes accessed by the unroll loop
s_mul_i32 s[sgprWrapUB+0], s[sgprLoopCounterL], s[sgprGlobalReadIncsB+0] // Number of bytes accessed by the unroll loop
s_sub_u32 s[sgprWrapUB+0], s[sgprGlobalReadIncsB+0], s[sgprWrapUB+0] // remove one iteration
s_subb_u32 s[sgprWrapUB+1], 0, s[sgprWrapUB+1]     // remove one iteration
s_add_u32 s[sgprSrdB+0], s[sgprSrdB+0], s38        // gra SRD += inc(lower)
s_addc_u32  s[sgprSrdB+1], s[sgprSrdB+1], s39      // gra SRD += inc(upper)
s_sub_u32 s[sgprShadowLimitB+0], s[sgprShadowLimitB+0], s38 // limit -= inc)
s_subb_u32 s[sgprShadowLimitB+1], s[sgprShadowLimitB+1], s39 // limit -= inc)
s_cmp_eq_u32 s[sgprShadowLimitB+1], 0              // are we within 2^32?
s_cselect_b32 s[sgprSrdB+2], s[sgprShadowLimitB+0], BufferLimitB // Move shadow to real if we are within 2^32
s_add_u32 s[sgprStaggerUIter], s[sgprStaggerUIter], 2 // Subtract (PGR-1); StaggerUIter now contains target iteration to wrap

/* local read addresses: init pointers a */


/* localReadInitPointers */

/* local read addresses: init pointers b */


/* localReadInitPointers */


/* prefetch: global -> local */

s_cmp_eq_u32 s[sgprLoopCounterL], 0                // at last iteration?
s_cbranch_scc1 ShadowInitStart_12                  // skip to ShadowInitStart iter b/c numIter==0


_buffer_load_b64 v[vgprG2LA+0:vgprG2LA+0+1], v[vgprGlobalReadOffsetA+0], s[sgprSrdA:sgprSrdA+3], 0, offen offset:0 // G -> Reg 0_0_0_0
_buffer_load_b64 v[vgprG2LA+2:vgprG2LA+2+1], v[vgprGlobalReadOffsetA+1], s[sgprSrdA:sgprSrdA+3], 0, offen offset:0 // G -> Reg 0_0_1_0
_buffer_load_b64 v[vgprG2LA+4:vgprG2LA+4+1], v[vgprGlobalReadOffsetA+2], s[sgprSrdA:sgprSrdA+3], 0, offen offset:0 // G -> Reg 0_0_2_0
_buffer_load_b64 v[vgprG2LA+6:vgprG2LA+6+1], v[vgprGlobalReadOffsetA+3], s[sgprSrdA:sgprSrdA+3], 0, offen offset:0 // G -> Reg 0_0_3_0


_buffer_load_b64 v[vgprG2LB+0:vgprG2LB+0+1], v[vgprGlobalReadOffsetB+0], s[sgprSrdB:sgprSrdB+3], 0, offen offset:0 // G -> Reg 0_0_0_0
_buffer_load_b64 v[vgprG2LB+2:vgprG2LB+2+1], v[vgprGlobalReadOffsetB+1], s[sgprSrdB:sgprSrdB+3], 0, offen offset:0 // G -> Reg 0_0_1_0
_buffer_load_b64 v[vgprG2LB+4:vgprG2LB+4+1], v[vgprGlobalReadOffsetB+2], s[sgprSrdB:sgprSrdB+3], 0, offen offset:0 // G -> Reg 0_0_2_0
_buffer_load_b64 v[vgprG2LB+6:vgprG2LB+6+1], v[vgprGlobalReadOffsetB+3], s[sgprSrdB:sgprSrdB+3], 0, offen offset:0 // G -> Reg 0_0_3_0
_buffer_load_b64 v[vgprG2LB+8:vgprG2LB+8+1], v[vgprGlobalReadOffsetB+4], s[sgprSrdB:sgprSrdB+3], 0, offen offset:0 // G -> Reg 0_0_4_0
_buffer_load_b64 v[vgprG2LB+10:vgprG2LB+10+1], v[vgprGlobalReadOffsetB+5], s[sgprSrdB:sgprSrdB+3], 0, offen offset:0 // G -> Reg 0_0_5_0
_buffer_load_b64 v[vgprG2LB+12:vgprG2LB+12+1], v[vgprGlobalReadOffsetB+6], s[sgprSrdB:sgprSrdB+3], 0, offen offset:0 // G -> Reg 0_0_6_0
_buffer_load_b64 v[vgprG2LB+14:vgprG2LB+14+1], v[vgprGlobalReadOffsetB+7], s[sgprSrdB:sgprSrdB+3], 0, offen offset:0 // G -> Reg 0_0_7_0


/* global read inc A loopL */
s_add_u32 s40, s[sgprLoopCounterL], 1              // remove pf(1)
s_cmp_eq_u32 s[sgprStaggerUIter], s40              // Is this wrapIter? (pf)
s_cselect_b32 s38, s[sgprWrapUA+0], s[sgprGlobalReadIncsA+0] // incLower <- ?
s_cselect_b32 s39, s[sgprWrapUA+1], 0              // incUpper <- ?
s_add_u32 s[sgprSrdA+0], s[sgprSrdA+0], s38        // gra SRD += inc(lower)
s_addc_u32  s[sgprSrdA+1], s[sgprSrdA+1], s39      // gra SRD += inc(upper)
s_sub_u32 s[sgprShadowLimitA+0], s[sgprShadowLimitA+0], s38 // limit -= inc)
s_subb_u32 s[sgprShadowLimitA+1], s[sgprShadowLimitA+1], s39 // limit -= inc)
s_cmp_eq_u32 s[sgprShadowLimitA+1], 0              // are we within 2^32?
s_cselect_b32 s[sgprSrdA+2], s[sgprShadowLimitA+0], BufferLimitA // Move shadow to real if we are within 2^32

/* global read inc B loopL */
s_add_u32 s40, s[sgprLoopCounterL], 1              // remove pf(1)
s_cmp_eq_u32 s[sgprStaggerUIter], s40              // Is this wrapIter? (pf)
s_cselect_b32 s38, s[sgprWrapUB+0], s[sgprGlobalReadIncsB+0] // incLower <- ?
s_cselect_b32 s39, s[sgprWrapUB+1], 0              // incUpper <- ?
s_add_u32 s[sgprSrdB+0], s[sgprSrdB+0], s38        // gra SRD += inc(lower)
s_addc_u32  s[sgprSrdB+1], s[sgprSrdB+1], s39      // gra SRD += inc(upper)
s_sub_u32 s[sgprShadowLimitB+0], s[sgprShadowLimitB+0], s38 // limit -= inc)
s_subb_u32 s[sgprShadowLimitB+1], s[sgprShadowLimitB+1], s39 // limit -= inc)
s_cmp_eq_u32 s[sgprShadowLimitB+1], 0              // are we within 2^32?
s_cselect_b32 s[sgprSrdB+2], s[sgprShadowLimitB+0], BufferLimitB // Move shadow to real if we are within 2^32


/******************************************/
/* End setupNewTile, isPap=False             */
/******************************************/

ShadowInitStart_12: // 

s_mov_b32 s[sgprSrdD+2], BufferOOB                 // 
s_mov_b32 s[sgprSrdD+3], Srd127_96                 // Set bits 127_96 in post-loop SRD

s_mov_b32 s[sgprSrdC+2], BufferOOB                 // 
s_mov_b32 s[sgprSrdC+3], Srd127_96                 // Set bits 127_96 in post-loop SRD


s_mul_i32 s40, MT1, s[sgprWorkGroup1]              // <- wg1*MT1
s_mul_hi_u32 s39, s40, s[sgprStrideC1J]            // CScale s40 by Stride
s_mul_i32 s38, s40, s[sgprStrideC1J]               // CScale s40 by Stride
s_lshl_b64 s[38:39], s[38:39], 1                   // scale by bpe
s_add_u32 s[sgprSrdC+0], s[sgprSrdC+0], s38        // add lo to SRD
s_addc_u32 s[sgprSrdC+1], s[sgprSrdC+1], s39       // add hi to SRD
s_mul_hi_u32 s39, s40, s[sgprStrideD1J]            // Scale s40 by Stride
s_mul_i32 s38, s40, s[sgprStrideD1J]               // Scale s40 by Stride
s_lshl_b64 s[38:39], s[38:39], 1                   // scale by bpe
s_add_u32 s[sgprSrdD+0], s[sgprSrdD+0], s38        // add lo to SRD
s_addc_u32 s[sgprSrdD+1], s[sgprSrdD+1], s39       // add hi to SRD


	;; [unrolled: 1-line block ×3, first 2 shown]
/* initC: remove C-tile 0-16 from pool */

/* initC: remove AB-tile 16-32 from pool */
v_mov_b32 v[vgprValuC+0], 0x0                      // initC
v_mov_b32 v[vgprValuC+1], 0x0                      // initC
	;; [unrolled: 1-line block ×10, first 2 shown]
v_mov_b32 v[vgprValuC+10], 0x0                     // initC
v_mov_b32 v[vgprValuC+11], 0x0                     // initC
	;; [unrolled: 1-line block ×6, first 2 shown]

s_cmp_eq_u32 s[sgprLoopCounterL], 0                // at last iteration?

/* after InitC, skip to end of prefetch last iter if numIter==0 */
s_cbranch_scc0 label_NoBranch_13                   // Only branch on scc1
s_getpc_B64 s[38:39]                               // addr of next instr
s_add_i32 s40, PrefetchGlobalLastIterEnd_5, 0x4    // target branch offset
s_add_u32 s38, s38, s40                            // add target branch offset
s_addc_u32 s39, s39, 0                             // add high and carry
s_setpc_b64 s[38:39]                               // branch to PrefetchGlobalLastIterEnd_5
label_NoBranch_13:

s_waitcnt vmcnt(0)                                 // lgkmcnt=-1 vmcnt=0 8wait for global read


/* local write a */
_ds_store_b16 v[vgprLocalWriteAddrA], v[vgprG2LA+0:vgprG2LA+0+0] offset:0 // lwoA_0_0_0_0 = (0 + 0*LSCA)*(MT0I+PAD) + (0*LSPA) = 0
_ds_store_b16_d16_hi v[vgprLocalWriteAddrA], v[vgprG2LA+0:vgprG2LA+0+0] offset:2 // lwoA_0_1_0_0 = (1 + 0*LSCA)*(MT0I+PAD) + (0*LSPA) = 2
_ds_store_b16 v[vgprLocalWriteAddrA], v[vgprG2LA+1:vgprG2LA+1+0] offset:128 // lwoA_0_2_0_0 = (2 + 0*LSCA)*(MT0I+PAD) + (0*LSPA) = 128
_ds_store_b16_d16_hi v[vgprLocalWriteAddrA], v[vgprG2LA+1:vgprG2LA+1+0] offset:130 // lwoA_0_3_0_0 = (3 + 0*LSCA)*(MT0I+PAD) + (0*LSPA) = 130
_ds_store_b16 v[vgprLocalWriteAddrA], v[vgprG2LA+2:vgprG2LA+2+0] offset:16 // lwoA_0_0_1_0 = (0 + 0*LSCA)*(MT0I+PAD) + (1*LSPA) = 16
_ds_store_b16_d16_hi v[vgprLocalWriteAddrA], v[vgprG2LA+2:vgprG2LA+2+0] offset:18 // lwoA_0_1_1_0 = (1 + 0*LSCA)*(MT0I+PAD) + (1*LSPA) = 18
_ds_store_b16 v[vgprLocalWriteAddrA], v[vgprG2LA+3:vgprG2LA+3+0] offset:144 // lwoA_0_2_1_0 = (2 + 0*LSCA)*(MT0I+PAD) + (1*LSPA) = 144
_ds_store_b16_d16_hi v[vgprLocalWriteAddrA], v[vgprG2LA+3:vgprG2LA+3+0] offset:146 // lwoA_0_3_1_0 = (3 + 0*LSCA)*(MT0I+PAD) + (1*LSPA) = 146
_ds_store_b16 v[vgprLocalWriteAddrA], v[vgprG2LA+4:vgprG2LA+4+0] offset:32 // lwoA_0_0_2_0 = (0 + 0*LSCA)*(MT0I+PAD) + (2*LSPA) = 32
_ds_store_b16_d16_hi v[vgprLocalWriteAddrA], v[vgprG2LA+4:vgprG2LA+4+0] offset:34 // lwoA_0_1_2_0 = (1 + 0*LSCA)*(MT0I+PAD) + (2*LSPA) = 34
_ds_store_b16 v[vgprLocalWriteAddrA], v[vgprG2LA+5:vgprG2LA+5+0] offset:160 // lwoA_0_2_2_0 = (2 + 0*LSCA)*(MT0I+PAD) + (2*LSPA) = 160
_ds_store_b16_d16_hi v[vgprLocalWriteAddrA], v[vgprG2LA+5:vgprG2LA+5+0] offset:162 // lwoA_0_3_2_0 = (3 + 0*LSCA)*(MT0I+PAD) + (2*LSPA) = 162
_ds_store_b16 v[vgprLocalWriteAddrA], v[vgprG2LA+6:vgprG2LA+6+0] offset:48 // lwoA_0_0_3_0 = (0 + 0*LSCA)*(MT0I+PAD) + (3*LSPA) = 48
_ds_store_b16_d16_hi v[vgprLocalWriteAddrA], v[vgprG2LA+6:vgprG2LA+6+0] offset:50 // lwoA_0_1_3_0 = (1 + 0*LSCA)*(MT0I+PAD) + (3*LSPA) = 50
_ds_store_b16 v[vgprLocalWriteAddrA], v[vgprG2LA+7:vgprG2LA+7+0] offset:176 // lwoA_0_2_3_0 = (2 + 0*LSCA)*(MT0I+PAD) + (3*LSPA) = 176
_ds_store_b16_d16_hi v[vgprLocalWriteAddrA], v[vgprG2LA+7:vgprG2LA+7+0] offset:178 // lwoA_0_3_3_0 = (3 + 0*LSCA)*(MT0I+PAD) + (3*LSPA) = 178

/* local write b */
_ds_store_b16 v[vgprLocalWriteAddrB], v[vgprG2LB+0:vgprG2LB+0+0] offset:0 // lwoB_0_0_0_0 = (0 + 0*LSCB) + (0*LSPB)(*MT1J+PAD) = 0
_ds_store_b16_d16_hi v[vgprLocalWriteAddrB], v[vgprG2LB+0:vgprG2LB+0+0] offset:128 // lwoB_0_0_0_1 = (0 + 0*LSCB) + (0*LSPB)(*MT1J+PAD) = 128
_ds_store_b16 v[vgprLocalWriteAddrB], v[vgprG2LB+1:vgprG2LB+1+0] offset:4 // lwoB_0_0_0_2 = (0 + 0*LSCB) + (0*LSPB)(*MT1J+PAD) = 4
_ds_store_b16_d16_hi v[vgprLocalWriteAddrB], v[vgprG2LB+1:vgprG2LB+1+0] offset:132 // lwoB_0_0_0_3 = (0 + 0*LSCB) + (0*LSPB)(*MT1J+PAD) = 132
_ds_store_b16 v[vgprLocalWriteAddrB], v[vgprG2LB+2:vgprG2LB+2+0] offset:1024 // lwoB_0_0_1_0 = (0 + 0*LSCB) + (1*LSPB)(*MT1J+PAD) = 1024
_ds_store_b16_d16_hi v[vgprLocalWriteAddrB], v[vgprG2LB+2:vgprG2LB+2+0] offset:1152 // lwoB_0_0_1_1 = (0 + 0*LSCB) + (1*LSPB)(*MT1J+PAD) = 1152
_ds_store_b16 v[vgprLocalWriteAddrB], v[vgprG2LB+3:vgprG2LB+3+0] offset:1028 // lwoB_0_0_1_2 = (0 + 0*LSCB) + (1*LSPB)(*MT1J+PAD) = 1028
_ds_store_b16_d16_hi v[vgprLocalWriteAddrB], v[vgprG2LB+3:vgprG2LB+3+0] offset:1156 // lwoB_0_0_1_3 = (0 + 0*LSCB) + (1*LSPB)(*MT1J+PAD) = 1156
_ds_store_b16 v[vgprLocalWriteAddrB], v[vgprG2LB+4:vgprG2LB+4+0] offset:2048 // lwoB_0_0_2_0 = (0 + 0*LSCB) + (2*LSPB)(*MT1J+PAD) = 2048
_ds_store_b16_d16_hi v[vgprLocalWriteAddrB], v[vgprG2LB+4:vgprG2LB+4+0] offset:2176 // lwoB_0_0_2_1 = (0 + 0*LSCB) + (2*LSPB)(*MT1J+PAD) = 2176
_ds_store_b16 v[vgprLocalWriteAddrB], v[vgprG2LB+5:vgprG2LB+5+0] offset:2052 // lwoB_0_0_2_2 = (0 + 0*LSCB) + (2*LSPB)(*MT1J+PAD) = 2052
_ds_store_b16_d16_hi v[vgprLocalWriteAddrB], v[vgprG2LB+5:vgprG2LB+5+0] offset:2180 // lwoB_0_0_2_3 = (0 + 0*LSCB) + (2*LSPB)(*MT1J+PAD) = 2180
_ds_store_b16 v[vgprLocalWriteAddrB], v[vgprG2LB+6:vgprG2LB+6+0] offset:3072 // lwoB_0_0_3_0 = (0 + 0*LSCB) + (3*LSPB)(*MT1J+PAD) = 3072
_ds_store_b16_d16_hi v[vgprLocalWriteAddrB], v[vgprG2LB+6:vgprG2LB+6+0] offset:3200 // lwoB_0_0_3_1 = (0 + 0*LSCB) + (3*LSPB)(*MT1J+PAD) = 3200
_ds_store_b16 v[vgprLocalWriteAddrB], v[vgprG2LB+7:vgprG2LB+7+0] offset:3076 // lwoB_0_0_3_2 = (0 + 0*LSCB) + (3*LSPB)(*MT1J+PAD) = 3076
_ds_store_b16_d16_hi v[vgprLocalWriteAddrB], v[vgprG2LB+7:vgprG2LB+7+0] offset:3204 // lwoB_0_0_3_3 = (0 + 0*LSCB) + (3*LSPB)(*MT1J+PAD) = 3204
_ds_store_b16 v[vgprLocalWriteAddrB], v[vgprG2LB+8:vgprG2LB+8+0] offset:4096 // lwoB_0_0_4_0 = (0 + 0*LSCB) + (4*LSPB)(*MT1J+PAD) = 4096
_ds_store_b16_d16_hi v[vgprLocalWriteAddrB], v[vgprG2LB+8:vgprG2LB+8+0] offset:4224 // lwoB_0_0_4_1 = (0 + 0*LSCB) + (4*LSPB)(*MT1J+PAD) = 4224
_ds_store_b16 v[vgprLocalWriteAddrB], v[vgprG2LB+9:vgprG2LB+9+0] offset:4100 // lwoB_0_0_4_2 = (0 + 0*LSCB) + (4*LSPB)(*MT1J+PAD) = 4100
_ds_store_b16_d16_hi v[vgprLocalWriteAddrB], v[vgprG2LB+9:vgprG2LB+9+0] offset:4228 // lwoB_0_0_4_3 = (0 + 0*LSCB) + (4*LSPB)(*MT1J+PAD) = 4228
_ds_store_b16 v[vgprLocalWriteAddrB], v[vgprG2LB+10:vgprG2LB+10+0] offset:5120 // lwoB_0_0_5_0 = (0 + 0*LSCB) + (5*LSPB)(*MT1J+PAD) = 5120
_ds_store_b16_d16_hi v[vgprLocalWriteAddrB], v[vgprG2LB+10:vgprG2LB+10+0] offset:5248 // lwoB_0_0_5_1 = (0 + 0*LSCB) + (5*LSPB)(*MT1J+PAD) = 5248
_ds_store_b16 v[vgprLocalWriteAddrB], v[vgprG2LB+11:vgprG2LB+11+0] offset:5124 // lwoB_0_0_5_2 = (0 + 0*LSCB) + (5*LSPB)(*MT1J+PAD) = 5124
_ds_store_b16_d16_hi v[vgprLocalWriteAddrB], v[vgprG2LB+11:vgprG2LB+11+0] offset:5252 // lwoB_0_0_5_3 = (0 + 0*LSCB) + (5*LSPB)(*MT1J+PAD) = 5252
_ds_store_b16 v[vgprLocalWriteAddrB], v[vgprG2LB+12:vgprG2LB+12+0] offset:6144 // lwoB_0_0_6_0 = (0 + 0*LSCB) + (6*LSPB)(*MT1J+PAD) = 6144
_ds_store_b16_d16_hi v[vgprLocalWriteAddrB], v[vgprG2LB+12:vgprG2LB+12+0] offset:6272 // lwoB_0_0_6_1 = (0 + 0*LSCB) + (6*LSPB)(*MT1J+PAD) = 6272
_ds_store_b16 v[vgprLocalWriteAddrB], v[vgprG2LB+13:vgprG2LB+13+0] offset:6148 // lwoB_0_0_6_2 = (0 + 0*LSCB) + (6*LSPB)(*MT1J+PAD) = 6148
_ds_store_b16_d16_hi v[vgprLocalWriteAddrB], v[vgprG2LB+13:vgprG2LB+13+0] offset:6276 // lwoB_0_0_6_3 = (0 + 0*LSCB) + (6*LSPB)(*MT1J+PAD) = 6276
_ds_store_b16 v[vgprLocalWriteAddrB], v[vgprG2LB+14:vgprG2LB+14+0] offset:7168 // lwoB_0_0_7_0 = (0 + 0*LSCB) + (7*LSPB)(*MT1J+PAD) = 7168
_ds_store_b16_d16_hi v[vgprLocalWriteAddrB], v[vgprG2LB+14:vgprG2LB+14+0] offset:7296 // lwoB_0_0_7_1 = (0 + 0*LSCB) + (7*LSPB)(*MT1J+PAD) = 7296
_ds_store_b16 v[vgprLocalWriteAddrB], v[vgprG2LB+15:vgprG2LB+15+0] offset:7172 // lwoB_0_0_7_2 = (0 + 0*LSCB) + (7*LSPB)(*MT1J+PAD) = 7172
_ds_store_b16_d16_hi v[vgprLocalWriteAddrB], v[vgprG2LB+15:vgprG2LB+15+0] offset:7300 // lwoB_0_0_7_3 = (0 + 0*LSCB) + (7*LSPB)(*MT1J+PAD) = 7300


/* local write swap a */


/* (EPS=1) local write swap internal offset -> 16384 */


/* local write swap b */


/* (EPS=1) local write swap internal offset -> 16384 */


	;; [unrolled: 1-line block ×3, first 2 shown]
s_waitcnt lgkmcnt(0)                               // lgkmcnt=0 vmcnt=-10prefetch wait for local write

s_waitcnt lgkmcnt(0) & vmcnt(0)                    // force waitcnt0
s_barrier //


/* local read prefetch a */

_ds_load_b64 v[vgprValuA_X0_I0+0:vgprValuA_X0_I0+0+1], v[vgprLocalReadAddrA] offset:0 // L -> Reg lro=0 swapByteOffset=0 ti=8 vIdx=0 rIdx=0 oIdx=0 buffer=0 iui=0


/* local read prefetch b */

_ds_load_b64 v[vgprValuB_X0_I0+0:vgprValuB_X0_I0+0+1], v[vgprLocalReadAddrB] offset:0 // L -> Reg lro=0 swapByteOffset=0 ti=16 vIdx=0 rIdx=0 oIdx=0 buffer=0 iui=0


/* local read inc a */

/* N/A, lro->32 */
/* self.localReadDoCntA 0 self.localReadDoCntB 0 */


/* local read inc b */

/* N/A, lro->64 */
/* self.localReadDoCntA 0 self.localReadDoCntB 0 */


/* local read prefetch a */

_ds_load_b64 v[vgprValuA_X0_I1+0:vgprValuA_X0_I1+0+1], v[vgprLocalReadAddrA] offset:64 // L -> Reg lro=32 swapByteOffset=0 ti=8 vIdx=0 rIdx=0 oIdx=0 buffer=0 iui=1


/* local read prefetch b */

_ds_load_b64 v[vgprValuB_X0_I1+0:vgprValuB_X0_I1+0+1], v[vgprLocalReadAddrB] offset:128 // L -> Reg lro=64 swapByteOffset=0 ti=16 vIdx=0 rIdx=0 oIdx=0 buffer=0 iui=1


/* local read inc a */

/* N/A, lro->64 */
/* self.localReadDoCntA 0 self.localReadDoCntB 0 */


/* local read inc b */

/* N/A, lro->128 */
/* self.localReadDoCntA 0 self.localReadDoCntB 0 */


	;; [unrolled: 1-line block ×3, first 2 shown]
/******************************************/
/* Unrolled Loop(s) - Begin               */
/******************************************/

openLoopL_14:
s_cmp_le_u32 s[sgprLoopCounterL], 0x1              // LoopCounterL < EndCounter
s_cbranch_scc1 LoopEndL_2                          // do not enter LoopL
LoopBeginL_1:


/******************************************/
/* Unrolled Loop 1/2 - Begin              */
/******************************************/

label_0015: // LoopCopy1 


/* Begin Each Unroll: Check VGPR.checkin for INT8 LW */


	;; [unrolled: 1-line block ×3, first 2 shown]
/* iter 0 */


/* local read a */
_ds_load_b64 v[vgprValuA_X1_I0+0:vgprValuA_X1_I0+0+1], v[vgprLocalReadAddrA] offset:128 // L -> Reg lro=64 swapByteOffset=0 ti=8 vIdx=0 rIdx=0 oIdx=0 buffer=1 iui=0

/* local read b */
_ds_load_b64 v[vgprValuB_X1_I0+0:vgprValuB_X1_I0+0+1], v[vgprLocalReadAddrB] offset:256 // L -> Reg lro=128 swapByteOffset=0 ti=16 vIdx=0 rIdx=0 oIdx=0 buffer=1 iui=0
_buffer_load_b64 v[vgprG2LA+0:vgprG2LA+0+1], v[vgprGlobalReadOffsetA+0], s[sgprSrdA:sgprSrdA+3], 0, offen offset:0 // G -> Reg 0_0_0_0

/* local read increment a */
/* N/A, lro->96 */
/* self.localReadDoCntA 0 self.localReadDoCntB 0 */

/* local read increment b */
/* N/A, lro->192 */
/* self.localReadDoCntA 0 self.localReadDoCntB 0 */

/* local read a */
_ds_load_b64 v[vgprValuA_X1_I1+0:vgprValuA_X1_I1+0+1], v[vgprLocalReadAddrA] offset:192 // L -> Reg lro=96 swapByteOffset=0 ti=8 vIdx=0 rIdx=0 oIdx=0 buffer=1 iui=1

/* local read b */
_ds_load_b64 v[vgprValuB_X1_I1+0:vgprValuB_X1_I1+0+1], v[vgprLocalReadAddrB] offset:384 // L -> Reg lro=192 swapByteOffset=0 ti=16 vIdx=0 rIdx=0 oIdx=0 buffer=1 iui=1

/* local read increment a */
/* N/A, lro->128 */
/* self.localReadDoCntA 0 self.localReadDoCntB 0 */

/* local read increment b */
/* N/A, lro->256 */
/* self.localReadDoCntA 0 self.localReadDoCntB 0 */
s_waitcnt lgkmcnt(4)                               // lgkmcnt=0 vmcnt=-1wait for prior local read local write old=0, new=4 newLW=0 newLR=0
.align32 8, 0xbf800001                             // align v_pk_fma
MAC_4x4_X0

/* iter 1 */


/* local read a */
_ds_load_b64 v[vgprValuA_X0_I0+0:vgprValuA_X0_I0+0+1], v[vgprLocalReadAddrA] offset:256 // L -> Reg lro=128 swapByteOffset=0 ti=8 vIdx=0 rIdx=0 oIdx=0 buffer=0 iui=0

/* local read b */
_ds_load_b64 v[vgprValuB_X0_I0+0:vgprValuB_X0_I0+0+1], v[vgprLocalReadAddrB] offset:512 // L -> Reg lro=256 swapByteOffset=0 ti=16 vIdx=0 rIdx=0 oIdx=0 buffer=0 iui=0
_buffer_load_b64 v[vgprG2LA+2:vgprG2LA+2+1], v[vgprGlobalReadOffsetA+1], s[sgprSrdA:sgprSrdA+3], 0, offen offset:0 // G -> Reg 0_0_1_0

/* local read increment a */
/* N/A, lro->160 */
/* self.localReadDoCntA 0 self.localReadDoCntB 0 */

/* local read increment b */
/* N/A, lro->320 */
/* self.localReadDoCntA 0 self.localReadDoCntB 0 */

/* local read a */
_ds_load_b64 v[vgprValuA_X0_I1+0:vgprValuA_X0_I1+0+1], v[vgprLocalReadAddrA] offset:320 // L -> Reg lro=160 swapByteOffset=0 ti=8 vIdx=0 rIdx=0 oIdx=0 buffer=0 iui=1

/* local read b */
_ds_load_b64 v[vgprValuB_X0_I1+0:vgprValuB_X0_I1+0+1], v[vgprLocalReadAddrB] offset:640 // L -> Reg lro=320 swapByteOffset=0 ti=16 vIdx=0 rIdx=0 oIdx=0 buffer=0 iui=1

/* local read increment a */
/* N/A, lro->192 */
/* self.localReadDoCntA 0 self.localReadDoCntB 0 */

/* local read increment b */
/* N/A, lro->384 */
/* self.localReadDoCntA 0 self.localReadDoCntB 0 */
s_waitcnt lgkmcnt(4)                               // lgkmcnt=0 vmcnt=-1wait for prior local read local write old=0, new=4 newLW=0 newLR=0
.align32 8, 0xbf800001                             // align v_pk_fma
MAC_4x4_X1

/* iter 2 */


/* local read a */
_ds_load_b64 v[vgprValuA_X1_I0+0:vgprValuA_X1_I0+0+1], v[vgprLocalReadAddrA] offset:384 // L -> Reg lro=192 swapByteOffset=0 ti=8 vIdx=0 rIdx=0 oIdx=0 buffer=1 iui=0

/* local read b */
_ds_load_b64 v[vgprValuB_X1_I0+0:vgprValuB_X1_I0+0+1], v[vgprLocalReadAddrB] offset:768 // L -> Reg lro=384 swapByteOffset=0 ti=16 vIdx=0 rIdx=0 oIdx=0 buffer=1 iui=0
_buffer_load_b64 v[vgprG2LA+4:vgprG2LA+4+1], v[vgprGlobalReadOffsetA+2], s[sgprSrdA:sgprSrdA+3], 0, offen offset:0 // G -> Reg 0_0_2_0

/* local read increment a */
/* N/A, lro->224 */
/* self.localReadDoCntA 0 self.localReadDoCntB 0 */

/* local read increment b */
/* N/A, lro->448 */
/* self.localReadDoCntA 0 self.localReadDoCntB 0 */

/* local read a */
_ds_load_b64 v[vgprValuA_X1_I1+0:vgprValuA_X1_I1+0+1], v[vgprLocalReadAddrA] offset:448 // L -> Reg lro=224 swapByteOffset=0 ti=8 vIdx=0 rIdx=0 oIdx=0 buffer=1 iui=1

/* local read b */
_ds_load_b64 v[vgprValuB_X1_I1+0:vgprValuB_X1_I1+0+1], v[vgprLocalReadAddrB] offset:896 // L -> Reg lro=448 swapByteOffset=0 ti=16 vIdx=0 rIdx=0 oIdx=0 buffer=1 iui=1

/* local read increment a */
/* N/A, lro->256 */
/* self.localReadDoCntA 0 self.localReadDoCntB 0 */

/* local read increment b */
/* N/A, lro->512 */
/* self.localReadDoCntA 0 self.localReadDoCntB 0 */
s_waitcnt lgkmcnt(4)                               // lgkmcnt=0 vmcnt=-1wait for prior local read local write old=0, new=4 newLW=0 newLR=0
.align32 8, 0xbf800001                             // align v_pk_fma
MAC_4x4_X0

/* iter 3 */


/* local read a */
_ds_load_b64 v[vgprValuA_X0_I0+0:vgprValuA_X0_I0+0+1], v[vgprLocalReadAddrA] offset:512 // L -> Reg lro=256 swapByteOffset=0 ti=8 vIdx=0 rIdx=0 oIdx=0 buffer=0 iui=0

/* local read b */
_ds_load_b64 v[vgprValuB_X0_I0+0:vgprValuB_X0_I0+0+1], v[vgprLocalReadAddrB] offset:1024 // L -> Reg lro=512 swapByteOffset=0 ti=16 vIdx=0 rIdx=0 oIdx=0 buffer=0 iui=0
_buffer_load_b64 v[vgprG2LA+6:vgprG2LA+6+1], v[vgprGlobalReadOffsetA+3], s[sgprSrdA:sgprSrdA+3], 0, offen offset:0 // G -> Reg 0_0_3_0

/* local read increment a */
/* N/A, lro->288 */
/* self.localReadDoCntA 0 self.localReadDoCntB 0 */

/* local read increment b */
/* N/A, lro->576 */
/* self.localReadDoCntA 0 self.localReadDoCntB 0 */

/* local read a */
_ds_load_b64 v[vgprValuA_X0_I1+0:vgprValuA_X0_I1+0+1], v[vgprLocalReadAddrA] offset:576 // L -> Reg lro=288 swapByteOffset=0 ti=8 vIdx=0 rIdx=0 oIdx=0 buffer=0 iui=1

/* local read b */
_ds_load_b64 v[vgprValuB_X0_I1+0:vgprValuB_X0_I1+0+1], v[vgprLocalReadAddrB] offset:1152 // L -> Reg lro=576 swapByteOffset=0 ti=16 vIdx=0 rIdx=0 oIdx=0 buffer=0 iui=1

/* local read increment a */
/* N/A, lro->320 */
/* self.localReadDoCntA 0 self.localReadDoCntB 0 */

/* local read increment b */
/* N/A, lro->640 */
/* self.localReadDoCntA 0 self.localReadDoCntB 0 */
s_waitcnt lgkmcnt(4)                               // lgkmcnt=0 vmcnt=-1wait for prior local read local write old=0, new=4 newLW=0 newLR=0
.align32 8, 0xbf800001                             // align v_pk_fma
MAC_4x4_X1

/* iter 4 */


/* local read a */
_ds_load_b64 v[vgprValuA_X1_I0+0:vgprValuA_X1_I0+0+1], v[vgprLocalReadAddrA] offset:640 // L -> Reg lro=320 swapByteOffset=0 ti=8 vIdx=0 rIdx=0 oIdx=0 buffer=1 iui=0

/* local read b */
_ds_load_b64 v[vgprValuB_X1_I0+0:vgprValuB_X1_I0+0+1], v[vgprLocalReadAddrB] offset:1280 // L -> Reg lro=640 swapByteOffset=0 ti=16 vIdx=0 rIdx=0 oIdx=0 buffer=1 iui=0
_buffer_load_b64 v[vgprG2LB+0:vgprG2LB+0+1], v[vgprGlobalReadOffsetB+0], s[sgprSrdB:sgprSrdB+3], 0, offen offset:0 // G -> Reg 0_0_0_0

/* local read increment a */
/* N/A, lro->352 */
/* self.localReadDoCntA 0 self.localReadDoCntB 0 */

/* local read increment b */
/* N/A, lro->704 */
/* self.localReadDoCntA 0 self.localReadDoCntB 0 */

/* local read a */
_ds_load_b64 v[vgprValuA_X1_I1+0:vgprValuA_X1_I1+0+1], v[vgprLocalReadAddrA] offset:704 // L -> Reg lro=352 swapByteOffset=0 ti=8 vIdx=0 rIdx=0 oIdx=0 buffer=1 iui=1

/* local read b */
_ds_load_b64 v[vgprValuB_X1_I1+0:vgprValuB_X1_I1+0+1], v[vgprLocalReadAddrB] offset:1408 // L -> Reg lro=704 swapByteOffset=0 ti=16 vIdx=0 rIdx=0 oIdx=0 buffer=1 iui=1

/* local read increment a */
/* N/A, lro->384 */
/* self.localReadDoCntA 0 self.localReadDoCntB 0 */

/* local read increment b */
/* N/A, lro->768 */
/* self.localReadDoCntA 0 self.localReadDoCntB 0 */
s_waitcnt lgkmcnt(4)                               // lgkmcnt=0 vmcnt=-1wait for prior local read local write old=0, new=4 newLW=0 newLR=0
.align32 8, 0xbf800001                             // align v_pk_fma
MAC_4x4_X0

/* iter 5 */


/* local read a */
_ds_load_b64 v[vgprValuA_X0_I0+0:vgprValuA_X0_I0+0+1], v[vgprLocalReadAddrA] offset:768 // L -> Reg lro=384 swapByteOffset=0 ti=8 vIdx=0 rIdx=0 oIdx=0 buffer=0 iui=0

/* local read b */
_ds_load_b64 v[vgprValuB_X0_I0+0:vgprValuB_X0_I0+0+1], v[vgprLocalReadAddrB] offset:1536 // L -> Reg lro=768 swapByteOffset=0 ti=16 vIdx=0 rIdx=0 oIdx=0 buffer=0 iui=0
_buffer_load_b64 v[vgprG2LB+2:vgprG2LB+2+1], v[vgprGlobalReadOffsetB+1], s[sgprSrdB:sgprSrdB+3], 0, offen offset:0 // G -> Reg 0_0_1_0

/* local read increment a */
/* N/A, lro->416 */
/* self.localReadDoCntA 0 self.localReadDoCntB 0 */

/* local read increment b */
/* N/A, lro->832 */
/* self.localReadDoCntA 0 self.localReadDoCntB 0 */

/* local read a */
_ds_load_b64 v[vgprValuA_X0_I1+0:vgprValuA_X0_I1+0+1], v[vgprLocalReadAddrA] offset:832 // L -> Reg lro=416 swapByteOffset=0 ti=8 vIdx=0 rIdx=0 oIdx=0 buffer=0 iui=1

/* local read b */
_ds_load_b64 v[vgprValuB_X0_I1+0:vgprValuB_X0_I1+0+1], v[vgprLocalReadAddrB] offset:1664 // L -> Reg lro=832 swapByteOffset=0 ti=16 vIdx=0 rIdx=0 oIdx=0 buffer=0 iui=1

/* local read increment a */
/* N/A, lro->448 */
/* self.localReadDoCntA 0 self.localReadDoCntB 0 */

/* local read increment b */
/* N/A, lro->896 */
/* self.localReadDoCntA 0 self.localReadDoCntB 0 */
s_waitcnt lgkmcnt(4)                               // lgkmcnt=0 vmcnt=-1wait for prior local read local write old=0, new=4 newLW=0 newLR=0
.align32 8, 0xbf800001                             // align v_pk_fma
MAC_4x4_X1

/* iter 6 */


/* local read a */
_ds_load_b64 v[vgprValuA_X1_I0+0:vgprValuA_X1_I0+0+1], v[vgprLocalReadAddrA] offset:896 // L -> Reg lro=448 swapByteOffset=0 ti=8 vIdx=0 rIdx=0 oIdx=0 buffer=1 iui=0

/* local read b */
_ds_load_b64 v[vgprValuB_X1_I0+0:vgprValuB_X1_I0+0+1], v[vgprLocalReadAddrB] offset:1792 // L -> Reg lro=896 swapByteOffset=0 ti=16 vIdx=0 rIdx=0 oIdx=0 buffer=1 iui=0
_buffer_load_b64 v[vgprG2LB+4:vgprG2LB+4+1], v[vgprGlobalReadOffsetB+2], s[sgprSrdB:sgprSrdB+3], 0, offen offset:0 // G -> Reg 0_0_2_0

/* local read increment a */
/* N/A, lro->480 */
/* self.localReadDoCntA 0 self.localReadDoCntB 0 */

/* local read increment b */
/* N/A, lro->960 */
/* self.localReadDoCntA 0 self.localReadDoCntB 0 */

/* local read a */
_ds_load_b64 v[vgprValuA_X1_I1+0:vgprValuA_X1_I1+0+1], v[vgprLocalReadAddrA] offset:960 // L -> Reg lro=480 swapByteOffset=0 ti=8 vIdx=0 rIdx=0 oIdx=0 buffer=1 iui=1

/* local read b */
_ds_load_b64 v[vgprValuB_X1_I1+0:vgprValuB_X1_I1+0+1], v[vgprLocalReadAddrB] offset:1920 // L -> Reg lro=960 swapByteOffset=0 ti=16 vIdx=0 rIdx=0 oIdx=0 buffer=1 iui=1

/* local read increment a */
/* N/A, lro->512 */
/* self.localReadDoCntA 0 self.localReadDoCntB 0 */

/* local read increment b */
/* N/A, lro->1024 */
/* self.localReadDoCntA 0 self.localReadDoCntB 0 */
s_waitcnt lgkmcnt(4)                               // lgkmcnt=0 vmcnt=-1wait for prior local read local write old=0, new=4 newLW=0 newLR=0
.align32 8, 0xbf800001                             // align v_pk_fma
MAC_4x4_X0

/* iter 7 */


/* local read a */
_ds_load_b64 v[vgprValuA_X0_I0+0:vgprValuA_X0_I0+0+1], v[vgprLocalReadAddrA] offset:1024 // L -> Reg lro=512 swapByteOffset=0 ti=8 vIdx=0 rIdx=0 oIdx=0 buffer=0 iui=0

/* local read b */
_ds_load_b64 v[vgprValuB_X0_I0+0:vgprValuB_X0_I0+0+1], v[vgprLocalReadAddrB] offset:2048 // L -> Reg lro=1024 swapByteOffset=0 ti=16 vIdx=0 rIdx=0 oIdx=0 buffer=0 iui=0
_buffer_load_b64 v[vgprG2LB+6:vgprG2LB+6+1], v[vgprGlobalReadOffsetB+3], s[sgprSrdB:sgprSrdB+3], 0, offen offset:0 // G -> Reg 0_0_3_0

/* local read increment a */
/* N/A, lro->544 */
/* self.localReadDoCntA 0 self.localReadDoCntB 0 */

/* local read increment b */
/* N/A, lro->1088 */
/* self.localReadDoCntA 0 self.localReadDoCntB 0 */

/* local read a */
_ds_load_b64 v[vgprValuA_X0_I1+0:vgprValuA_X0_I1+0+1], v[vgprLocalReadAddrA] offset:1088 // L -> Reg lro=544 swapByteOffset=0 ti=8 vIdx=0 rIdx=0 oIdx=0 buffer=0 iui=1

/* local read b */
_ds_load_b64 v[vgprValuB_X0_I1+0:vgprValuB_X0_I1+0+1], v[vgprLocalReadAddrB] offset:2176 // L -> Reg lro=1088 swapByteOffset=0 ti=16 vIdx=0 rIdx=0 oIdx=0 buffer=0 iui=1

/* local read increment a */
/* N/A, lro->576 */
/* self.localReadDoCntA 0 self.localReadDoCntB 0 */

/* local read increment b */
/* N/A, lro->1152 */
/* self.localReadDoCntA 0 self.localReadDoCntB 0 */
s_waitcnt lgkmcnt(4)                               // lgkmcnt=0 vmcnt=-1wait for prior local read local write old=0, new=4 newLW=0 newLR=0
.align32 8, 0xbf800001                             // align v_pk_fma
MAC_4x4_X1

/* iter 8 */


/* local read a */
_ds_load_b64 v[vgprValuA_X1_I0+0:vgprValuA_X1_I0+0+1], v[vgprLocalReadAddrA] offset:1152 // L -> Reg lro=576 swapByteOffset=0 ti=8 vIdx=0 rIdx=0 oIdx=0 buffer=1 iui=0

/* local read b */
_ds_load_b64 v[vgprValuB_X1_I0+0:vgprValuB_X1_I0+0+1], v[vgprLocalReadAddrB] offset:2304 // L -> Reg lro=1152 swapByteOffset=0 ti=16 vIdx=0 rIdx=0 oIdx=0 buffer=1 iui=0
_buffer_load_b64 v[vgprG2LB+8:vgprG2LB+8+1], v[vgprGlobalReadOffsetB+4], s[sgprSrdB:sgprSrdB+3], 0, offen offset:0 // G -> Reg 0_0_4_0

/* local read increment a */
/* N/A, lro->608 */
/* self.localReadDoCntA 0 self.localReadDoCntB 0 */

/* local read increment b */
/* N/A, lro->1216 */
/* self.localReadDoCntA 0 self.localReadDoCntB 0 */

/* local read a */
_ds_load_b64 v[vgprValuA_X1_I1+0:vgprValuA_X1_I1+0+1], v[vgprLocalReadAddrA] offset:1216 // L -> Reg lro=608 swapByteOffset=0 ti=8 vIdx=0 rIdx=0 oIdx=0 buffer=1 iui=1

/* local read b */
_ds_load_b64 v[vgprValuB_X1_I1+0:vgprValuB_X1_I1+0+1], v[vgprLocalReadAddrB] offset:2432 // L -> Reg lro=1216 swapByteOffset=0 ti=16 vIdx=0 rIdx=0 oIdx=0 buffer=1 iui=1

/* local read increment a */
/* N/A, lro->640 */
/* self.localReadDoCntA 0 self.localReadDoCntB 0 */

/* local read increment b */
/* N/A, lro->1280 */
/* self.localReadDoCntA 0 self.localReadDoCntB 0 */
s_waitcnt lgkmcnt(4)                               // lgkmcnt=0 vmcnt=-1wait for prior local read local write old=0, new=4 newLW=0 newLR=0
.align32 8, 0xbf800001                             // align v_pk_fma
MAC_4x4_X0

/* iter 9 */


/* local read a */
_ds_load_b64 v[vgprValuA_X0_I0+0:vgprValuA_X0_I0+0+1], v[vgprLocalReadAddrA] offset:1280 // L -> Reg lro=640 swapByteOffset=0 ti=8 vIdx=0 rIdx=0 oIdx=0 buffer=0 iui=0

/* local read b */
_ds_load_b64 v[vgprValuB_X0_I0+0:vgprValuB_X0_I0+0+1], v[vgprLocalReadAddrB] offset:2560 // L -> Reg lro=1280 swapByteOffset=0 ti=16 vIdx=0 rIdx=0 oIdx=0 buffer=0 iui=0
_buffer_load_b64 v[vgprG2LB+10:vgprG2LB+10+1], v[vgprGlobalReadOffsetB+5], s[sgprSrdB:sgprSrdB+3], 0, offen offset:0 // G -> Reg 0_0_5_0

/* local read increment a */
/* N/A, lro->672 */
/* self.localReadDoCntA 0 self.localReadDoCntB 0 */

/* local read increment b */
/* N/A, lro->1344 */
/* self.localReadDoCntA 0 self.localReadDoCntB 0 */

/* local read a */
_ds_load_b64 v[vgprValuA_X0_I1+0:vgprValuA_X0_I1+0+1], v[vgprLocalReadAddrA] offset:1344 // L -> Reg lro=672 swapByteOffset=0 ti=8 vIdx=0 rIdx=0 oIdx=0 buffer=0 iui=1

/* local read b */
_ds_load_b64 v[vgprValuB_X0_I1+0:vgprValuB_X0_I1+0+1], v[vgprLocalReadAddrB] offset:2688 // L -> Reg lro=1344 swapByteOffset=0 ti=16 vIdx=0 rIdx=0 oIdx=0 buffer=0 iui=1

/* local read increment a */
/* N/A, lro->704 */
/* self.localReadDoCntA 0 self.localReadDoCntB 0 */

/* local read increment b */
/* N/A, lro->1408 */
/* self.localReadDoCntA 0 self.localReadDoCntB 0 */
s_waitcnt lgkmcnt(4)                               // lgkmcnt=0 vmcnt=-1wait for prior local read local write old=0, new=4 newLW=0 newLR=0
.align32 8, 0xbf800001                             // align v_pk_fma
MAC_4x4_X1

/* iter 10 */


/* local read a */
_ds_load_b64 v[vgprValuA_X1_I0+0:vgprValuA_X1_I0+0+1], v[vgprLocalReadAddrA] offset:1408 // L -> Reg lro=704 swapByteOffset=0 ti=8 vIdx=0 rIdx=0 oIdx=0 buffer=1 iui=0

/* local read b */
_ds_load_b64 v[vgprValuB_X1_I0+0:vgprValuB_X1_I0+0+1], v[vgprLocalReadAddrB] offset:2816 // L -> Reg lro=1408 swapByteOffset=0 ti=16 vIdx=0 rIdx=0 oIdx=0 buffer=1 iui=0
_buffer_load_b64 v[vgprG2LB+12:vgprG2LB+12+1], v[vgprGlobalReadOffsetB+6], s[sgprSrdB:sgprSrdB+3], 0, offen offset:0 // G -> Reg 0_0_6_0

/* local read increment a */
/* N/A, lro->736 */
/* self.localReadDoCntA 0 self.localReadDoCntB 0 */

/* local read increment b */
/* N/A, lro->1472 */
/* self.localReadDoCntA 0 self.localReadDoCntB 0 */

/* local read a */
_ds_load_b64 v[vgprValuA_X1_I1+0:vgprValuA_X1_I1+0+1], v[vgprLocalReadAddrA] offset:1472 // L -> Reg lro=736 swapByteOffset=0 ti=8 vIdx=0 rIdx=0 oIdx=0 buffer=1 iui=1

/* local read b */
_ds_load_b64 v[vgprValuB_X1_I1+0:vgprValuB_X1_I1+0+1], v[vgprLocalReadAddrB] offset:2944 // L -> Reg lro=1472 swapByteOffset=0 ti=16 vIdx=0 rIdx=0 oIdx=0 buffer=1 iui=1

/* local read increment a */
/* N/A, lro->768 */
/* self.localReadDoCntA 0 self.localReadDoCntB 0 */

/* local read increment b */
/* N/A, lro->1536 */
/* self.localReadDoCntA 0 self.localReadDoCntB 0 */
s_waitcnt lgkmcnt(4)                               // lgkmcnt=0 vmcnt=-1wait for prior local read local write old=0, new=4 newLW=0 newLR=0
.align32 8, 0xbf800001                             // align v_pk_fma
MAC_4x4_X0

/* iter 11 */


/* local read a */
_ds_load_b64 v[vgprValuA_X0_I0+0:vgprValuA_X0_I0+0+1], v[vgprLocalReadAddrA] offset:1536 // L -> Reg lro=768 swapByteOffset=0 ti=8 vIdx=0 rIdx=0 oIdx=0 buffer=0 iui=0

/* local read b */
_ds_load_b64 v[vgprValuB_X0_I0+0:vgprValuB_X0_I0+0+1], v[vgprLocalReadAddrB] offset:3072 // L -> Reg lro=1536 swapByteOffset=0 ti=16 vIdx=0 rIdx=0 oIdx=0 buffer=0 iui=0
_buffer_load_b64 v[vgprG2LB+14:vgprG2LB+14+1], v[vgprGlobalReadOffsetB+7], s[sgprSrdB:sgprSrdB+3], 0, offen offset:0 // G -> Reg 0_0_7_0

/* local read increment a */
/* N/A, lro->800 */
/* self.localReadDoCntA 0 self.localReadDoCntB 0 */

/* local read increment b */
/* N/A, lro->1600 */
/* self.localReadDoCntA 0 self.localReadDoCntB 0 */

/* local read a */
_ds_load_b64 v[vgprValuA_X0_I1+0:vgprValuA_X0_I1+0+1], v[vgprLocalReadAddrA] offset:1600 // L -> Reg lro=800 swapByteOffset=0 ti=8 vIdx=0 rIdx=0 oIdx=0 buffer=0 iui=1

/* local read b */
_ds_load_b64 v[vgprValuB_X0_I1+0:vgprValuB_X0_I1+0+1], v[vgprLocalReadAddrB] offset:3200 // L -> Reg lro=1600 swapByteOffset=0 ti=16 vIdx=0 rIdx=0 oIdx=0 buffer=0 iui=1

/* local read increment a */
/* N/A, lro->832 */
/* self.localReadDoCntA 0 self.localReadDoCntB 0 */

/* local read increment b */
/* N/A, lro->1664 */
/* self.localReadDoCntA 0 self.localReadDoCntB 0 */
s_waitcnt lgkmcnt(4)                               // lgkmcnt=0 vmcnt=-1wait for prior local read local write old=0, new=4 newLW=0 newLR=0
.align32 8, 0xbf800001                             // align v_pk_fma
MAC_4x4_X1

/* iter 12 */


/* local read a */
_ds_load_b64 v[vgprValuA_X1_I0+0:vgprValuA_X1_I0+0+1], v[vgprLocalReadAddrA] offset:1664 // L -> Reg lro=832 swapByteOffset=0 ti=8 vIdx=0 rIdx=0 oIdx=0 buffer=1 iui=0

/* local read b */
_ds_load_b64 v[vgprValuB_X1_I0+0:vgprValuB_X1_I0+0+1], v[vgprLocalReadAddrB] offset:3328 // L -> Reg lro=1664 swapByteOffset=0 ti=16 vIdx=0 rIdx=0 oIdx=0 buffer=1 iui=0

/* global read inc A loopL */
s_cmp_eq_u32 s[sgprLoopCounterL], s[sgprStaggerUIter] // Is this the wrapIter?
s_cselect_b32 s38, s[sgprWrapUA+0], s[sgprGlobalReadIncsA+0] // incLower <- ?
s_cselect_b32 s39, s[sgprWrapUA+1], 0              // incUpper <- ?
s_add_u32 s[sgprSrdA+0], s[sgprSrdA+0], s38        // gra SRD += inc(lower)
s_addc_u32  s[sgprSrdA+1], s[sgprSrdA+1], s39      // gra SRD += inc(upper)
s_sub_u32 s[sgprShadowLimitA+0], s[sgprShadowLimitA+0], s38 // limit -= inc)
s_subb_u32 s[sgprShadowLimitA+1], s[sgprShadowLimitA+1], s39 // limit -= inc)
s_cmp_eq_u32 s[sgprShadowLimitA+1], 0              // are we within 2^32?
s_cselect_b32 s[sgprSrdA+2], s[sgprShadowLimitA+0], BufferLimitA // Move shadow to real if we are within 2^32

/* local read increment a */
/* N/A, lro->864 */
/* self.localReadDoCntA 0 self.localReadDoCntB 0 */

/* local read increment b */
/* N/A, lro->1728 */
/* self.localReadDoCntA 0 self.localReadDoCntB 0 */

/* local read a */
_ds_load_b64 v[vgprValuA_X1_I1+0:vgprValuA_X1_I1+0+1], v[vgprLocalReadAddrA] offset:1728 // L -> Reg lro=864 swapByteOffset=0 ti=8 vIdx=0 rIdx=0 oIdx=0 buffer=1 iui=1

/* local read b */
_ds_load_b64 v[vgprValuB_X1_I1+0:vgprValuB_X1_I1+0+1], v[vgprLocalReadAddrB] offset:3456 // L -> Reg lro=1728 swapByteOffset=0 ti=16 vIdx=0 rIdx=0 oIdx=0 buffer=1 iui=1

/* local read increment a */
/* N/A, lro->896 */
/* self.localReadDoCntA 0 self.localReadDoCntB 0 */

/* local read increment b */
/* N/A, lro->1792 */
/* self.localReadDoCntA 0 self.localReadDoCntB 0 */
s_waitcnt lgkmcnt(4)                               // lgkmcnt=0 vmcnt=-1wait for prior local read local write old=0, new=4 newLW=0 newLR=0
.align32 8, 0xbf800001                             // align v_pk_fma
MAC_4x4_X0

/* iter 13 */


/* local read a */
_ds_load_b64 v[vgprValuA_X0_I0+0:vgprValuA_X0_I0+0+1], v[vgprLocalReadAddrA] offset:1792 // L -> Reg lro=896 swapByteOffset=0 ti=8 vIdx=0 rIdx=0 oIdx=0 buffer=0 iui=0

/* local read b */
_ds_load_b64 v[vgprValuB_X0_I0+0:vgprValuB_X0_I0+0+1], v[vgprLocalReadAddrB] offset:3584 // L -> Reg lro=1792 swapByteOffset=0 ti=16 vIdx=0 rIdx=0 oIdx=0 buffer=0 iui=0

/* global read inc B loopL */
s_cmp_eq_u32 s[sgprLoopCounterL], s[sgprStaggerUIter] // Is this the wrapIter?
s_cselect_b32 s38, s[sgprWrapUB+0], s[sgprGlobalReadIncsB+0] // incLower <- ?
s_cselect_b32 s39, s[sgprWrapUB+1], 0              // incUpper <- ?
s_add_u32 s[sgprSrdB+0], s[sgprSrdB+0], s38        // gra SRD += inc(lower)
s_addc_u32  s[sgprSrdB+1], s[sgprSrdB+1], s39      // gra SRD += inc(upper)
s_sub_u32 s[sgprShadowLimitB+0], s[sgprShadowLimitB+0], s38 // limit -= inc)
s_subb_u32 s[sgprShadowLimitB+1], s[sgprShadowLimitB+1], s39 // limit -= inc)
s_cmp_eq_u32 s[sgprShadowLimitB+1], 0              // are we within 2^32?
s_cselect_b32 s[sgprSrdB+2], s[sgprShadowLimitB+0], BufferLimitB // Move shadow to real if we are within 2^32

/* local read increment a */
/* N/A, lro->928 */
/* self.localReadDoCntA 0 self.localReadDoCntB 0 */

/* local read increment b */
/* N/A, lro->1856 */
/* self.localReadDoCntA 0 self.localReadDoCntB 0 */

/* local read a */
_ds_load_b64 v[vgprValuA_X0_I1+0:vgprValuA_X0_I1+0+1], v[vgprLocalReadAddrA] offset:1856 // L -> Reg lro=928 swapByteOffset=0 ti=8 vIdx=0 rIdx=0 oIdx=0 buffer=0 iui=1

/* local read b */
_ds_load_b64 v[vgprValuB_X0_I1+0:vgprValuB_X0_I1+0+1], v[vgprLocalReadAddrB] offset:3712 // L -> Reg lro=1856 swapByteOffset=0 ti=16 vIdx=0 rIdx=0 oIdx=0 buffer=0 iui=1

/* local read increment a */
/* N/A, lro->960 */
/* self.localReadDoCntA 0 self.localReadDoCntB 0 */

/* local read increment b */
/* N/A, lro->1920 */
/* self.localReadDoCntA 0 self.localReadDoCntB 0 */
s_waitcnt lgkmcnt(4)                               // lgkmcnt=0 vmcnt=-1wait for prior local read local write old=0, new=4 newLW=0 newLR=0
.align32 8, 0xbf800001                             // align v_pk_fma
MAC_4x4_X1

/* iter 14 */


/* local read a */
_ds_load_b64 v[vgprValuA_X1_I0+0:vgprValuA_X1_I0+0+1], v[vgprLocalReadAddrA] offset:1920 // L -> Reg lro=960 swapByteOffset=0 ti=8 vIdx=0 rIdx=0 oIdx=0 buffer=1 iui=0

/* local read b */
_ds_load_b64 v[vgprValuB_X1_I0+0:vgprValuB_X1_I0+0+1], v[vgprLocalReadAddrB] offset:3840 // L -> Reg lro=1920 swapByteOffset=0 ti=16 vIdx=0 rIdx=0 oIdx=0 buffer=1 iui=0

/* local read increment a */
/* N/A, lro->992 */
/* self.localReadDoCntA 0 self.localReadDoCntB 0 */

/* local read increment b */
/* N/A, lro->1984 */
/* self.localReadDoCntA 0 self.localReadDoCntB 0 */

/* local read a */
_ds_load_b64 v[vgprValuA_X1_I1+0:vgprValuA_X1_I1+0+1], v[vgprLocalReadAddrA] offset:1984 // L -> Reg lro=992 swapByteOffset=0 ti=8 vIdx=0 rIdx=0 oIdx=0 buffer=1 iui=1

/* local read b */
_ds_load_b64 v[vgprValuB_X1_I1+0:vgprValuB_X1_I1+0+1], v[vgprLocalReadAddrB] offset:3968 // L -> Reg lro=1984 swapByteOffset=0 ti=16 vIdx=0 rIdx=0 oIdx=0 buffer=1 iui=1

/* local read increment a */
/* N/A, lro->1024 */
/* self.localReadDoCntA 0 self.localReadDoCntB 0 */

/* local read increment b */
/* N/A, lro->2048 */
/* self.localReadDoCntA 0 self.localReadDoCntB 0 */
s_waitcnt lgkmcnt(4)                               // lgkmcnt=0 vmcnt=-1wait for prior local read local write old=0, new=4 newLW=0 newLR=0
.align32 8, 0xbf800001                             // align v_pk_fma
MAC_4x4_X0

/* iter 15 */


/* local read a */
_ds_load_b64 v[vgprValuA_X0_I0+0:vgprValuA_X0_I0+0+1], v[vgprLocalReadAddrA] offset:2048 // L -> Reg lro=1024 swapByteOffset=0 ti=8 vIdx=0 rIdx=0 oIdx=0 buffer=0 iui=0

/* local read b */
_ds_load_b64 v[vgprValuB_X0_I0+0:vgprValuB_X0_I0+0+1], v[vgprLocalReadAddrB] offset:4096 // L -> Reg lro=2048 swapByteOffset=0 ti=16 vIdx=0 rIdx=0 oIdx=0 buffer=0 iui=0

/* local read increment a */
/* N/A, lro->1056 */
/* self.localReadDoCntA 0 self.localReadDoCntB 0 */

/* local read increment b */
/* N/A, lro->2112 */
/* self.localReadDoCntA 0 self.localReadDoCntB 0 */

/* local read a */
_ds_load_b64 v[vgprValuA_X0_I1+0:vgprValuA_X0_I1+0+1], v[vgprLocalReadAddrA] offset:2112 // L -> Reg lro=1056 swapByteOffset=0 ti=8 vIdx=0 rIdx=0 oIdx=0 buffer=0 iui=1

/* local read b */
_ds_load_b64 v[vgprValuB_X0_I1+0:vgprValuB_X0_I1+0+1], v[vgprLocalReadAddrB] offset:4224 // L -> Reg lro=2112 swapByteOffset=0 ti=16 vIdx=0 rIdx=0 oIdx=0 buffer=0 iui=1

/* local read increment a */
/* N/A, lro->1088 */
/* self.localReadDoCntA 0 self.localReadDoCntB 0 */

/* local read increment b */
/* N/A, lro->2176 */
/* self.localReadDoCntA 0 self.localReadDoCntB 0 */
s_waitcnt lgkmcnt(4)                               // lgkmcnt=0 vmcnt=-1wait for prior local read local write old=0, new=4 newLW=0 newLR=0
.align32 8, 0xbf800001                             // align v_pk_fma
MAC_4x4_X1

/* iter 16 */


/* local read a */
_ds_load_b64 v[vgprValuA_X1_I0+0:vgprValuA_X1_I0+0+1], v[vgprLocalReadAddrA] offset:2176 // L -> Reg lro=1088 swapByteOffset=0 ti=8 vIdx=0 rIdx=0 oIdx=0 buffer=1 iui=0

/* local read b */
_ds_load_b64 v[vgprValuB_X1_I0+0:vgprValuB_X1_I0+0+1], v[vgprLocalReadAddrB] offset:4352 // L -> Reg lro=2176 swapByteOffset=0 ti=16 vIdx=0 rIdx=0 oIdx=0 buffer=1 iui=0

/* local read increment a */
/* N/A, lro->1120 */
/* self.localReadDoCntA 0 self.localReadDoCntB 0 */

/* local read increment b */
/* N/A, lro->2240 */
/* self.localReadDoCntA 0 self.localReadDoCntB 0 */

/* local read a */
_ds_load_b64 v[vgprValuA_X1_I1+0:vgprValuA_X1_I1+0+1], v[vgprLocalReadAddrA] offset:2240 // L -> Reg lro=1120 swapByteOffset=0 ti=8 vIdx=0 rIdx=0 oIdx=0 buffer=1 iui=1

/* local read b */
_ds_load_b64 v[vgprValuB_X1_I1+0:vgprValuB_X1_I1+0+1], v[vgprLocalReadAddrB] offset:4480 // L -> Reg lro=2240 swapByteOffset=0 ti=16 vIdx=0 rIdx=0 oIdx=0 buffer=1 iui=1

/* local read increment a */
/* N/A, lro->1152 */
/* self.localReadDoCntA 0 self.localReadDoCntB 0 */

/* local read increment b */
/* N/A, lro->2304 */
/* self.localReadDoCntA 0 self.localReadDoCntB 0 */
s_waitcnt lgkmcnt(4)                               // lgkmcnt=0 vmcnt=-1wait for prior local read local write old=0, new=4 newLW=0 newLR=0
.align32 8, 0xbf800001                             // align v_pk_fma
MAC_4x4_X0

/* iter 17 */


/* local read a */
_ds_load_b64 v[vgprValuA_X0_I0+0:vgprValuA_X0_I0+0+1], v[vgprLocalReadAddrA] offset:2304 // L -> Reg lro=1152 swapByteOffset=0 ti=8 vIdx=0 rIdx=0 oIdx=0 buffer=0 iui=0

/* local read b */
_ds_load_b64 v[vgprValuB_X0_I0+0:vgprValuB_X0_I0+0+1], v[vgprLocalReadAddrB] offset:4608 // L -> Reg lro=2304 swapByteOffset=0 ti=16 vIdx=0 rIdx=0 oIdx=0 buffer=0 iui=0

/* local read increment a */
/* N/A, lro->1184 */
/* self.localReadDoCntA 0 self.localReadDoCntB 0 */

/* local read increment b */
/* N/A, lro->2368 */
/* self.localReadDoCntA 0 self.localReadDoCntB 0 */

/* local read a */
_ds_load_b64 v[vgprValuA_X0_I1+0:vgprValuA_X0_I1+0+1], v[vgprLocalReadAddrA] offset:2368 // L -> Reg lro=1184 swapByteOffset=0 ti=8 vIdx=0 rIdx=0 oIdx=0 buffer=0 iui=1

/* local read b */
_ds_load_b64 v[vgprValuB_X0_I1+0:vgprValuB_X0_I1+0+1], v[vgprLocalReadAddrB] offset:4736 // L -> Reg lro=2368 swapByteOffset=0 ti=16 vIdx=0 rIdx=0 oIdx=0 buffer=0 iui=1

/* local read increment a */
/* N/A, lro->1216 */
/* self.localReadDoCntA 0 self.localReadDoCntB 0 */

/* local read increment b */
/* N/A, lro->2432 */
/* self.localReadDoCntA 0 self.localReadDoCntB 0 */
s_waitcnt lgkmcnt(4)                               // lgkmcnt=0 vmcnt=-1wait for prior local read local write old=0, new=4 newLW=0 newLR=0
.align32 8, 0xbf800001                             // align v_pk_fma
MAC_4x4_X1

/* iter 18 */


/* local read a */
_ds_load_b64 v[vgprValuA_X1_I0+0:vgprValuA_X1_I0+0+1], v[vgprLocalReadAddrA] offset:2432 // L -> Reg lro=1216 swapByteOffset=0 ti=8 vIdx=0 rIdx=0 oIdx=0 buffer=1 iui=0

/* local read b */
_ds_load_b64 v[vgprValuB_X1_I0+0:vgprValuB_X1_I0+0+1], v[vgprLocalReadAddrB] offset:4864 // L -> Reg lro=2432 swapByteOffset=0 ti=16 vIdx=0 rIdx=0 oIdx=0 buffer=1 iui=0

/* local read increment a */
/* N/A, lro->1248 */
/* self.localReadDoCntA 0 self.localReadDoCntB 0 */

/* local read increment b */
/* N/A, lro->2496 */
/* self.localReadDoCntA 0 self.localReadDoCntB 0 */

/* local read a */
_ds_load_b64 v[vgprValuA_X1_I1+0:vgprValuA_X1_I1+0+1], v[vgprLocalReadAddrA] offset:2496 // L -> Reg lro=1248 swapByteOffset=0 ti=8 vIdx=0 rIdx=0 oIdx=0 buffer=1 iui=1

/* local read b */
_ds_load_b64 v[vgprValuB_X1_I1+0:vgprValuB_X1_I1+0+1], v[vgprLocalReadAddrB] offset:4992 // L -> Reg lro=2496 swapByteOffset=0 ti=16 vIdx=0 rIdx=0 oIdx=0 buffer=1 iui=1

/* local read increment a */
/* N/A, lro->1280 */
/* self.localReadDoCntA 0 self.localReadDoCntB 0 */

/* local read increment b */
/* N/A, lro->2560 */
/* self.localReadDoCntA 0 self.localReadDoCntB 0 */
s_waitcnt lgkmcnt(4)                               // lgkmcnt=0 vmcnt=-1wait for prior local read local write old=0, new=4 newLW=0 newLR=0
.align32 8, 0xbf800001                             // align v_pk_fma
MAC_4x4_X0

/* iter 19 */


/* local read a */
_ds_load_b64 v[vgprValuA_X0_I0+0:vgprValuA_X0_I0+0+1], v[vgprLocalReadAddrA] offset:2560 // L -> Reg lro=1280 swapByteOffset=0 ti=8 vIdx=0 rIdx=0 oIdx=0 buffer=0 iui=0

/* local read b */
_ds_load_b64 v[vgprValuB_X0_I0+0:vgprValuB_X0_I0+0+1], v[vgprLocalReadAddrB] offset:5120 // L -> Reg lro=2560 swapByteOffset=0 ti=16 vIdx=0 rIdx=0 oIdx=0 buffer=0 iui=0

/* local read increment a */
/* N/A, lro->1312 */
/* self.localReadDoCntA 0 self.localReadDoCntB 0 */

/* local read increment b */
/* N/A, lro->2624 */
/* self.localReadDoCntA 0 self.localReadDoCntB 0 */

/* local read a */
_ds_load_b64 v[vgprValuA_X0_I1+0:vgprValuA_X0_I1+0+1], v[vgprLocalReadAddrA] offset:2624 // L -> Reg lro=1312 swapByteOffset=0 ti=8 vIdx=0 rIdx=0 oIdx=0 buffer=0 iui=1

/* local read b */
_ds_load_b64 v[vgprValuB_X0_I1+0:vgprValuB_X0_I1+0+1], v[vgprLocalReadAddrB] offset:5248 // L -> Reg lro=2624 swapByteOffset=0 ti=16 vIdx=0 rIdx=0 oIdx=0 buffer=0 iui=1

/* local read increment a */
/* N/A, lro->1344 */
/* self.localReadDoCntA 0 self.localReadDoCntB 0 */

/* local read increment b */
/* N/A, lro->2688 */
/* self.localReadDoCntA 0 self.localReadDoCntB 0 */
/* sched write - iter 19 writesPerItem=4 */
s_waitcnt vmcnt(0)                                 // lgkmcnt=-1 vmcnt=0wait for global read before writing to local
_ds_store_b16 v[vgprLocalWriteAddrA], v[vgprG2LA+0:vgprG2LA+0+0] offset:16384 // lwoA_0_0_0_0 = (0 + 0*LSCA)*(MT0I+PAD) + (0*LSPA) = 16384
_ds_store_b16_d16_hi v[vgprLocalWriteAddrA], v[vgprG2LA+0:vgprG2LA+0+0] offset:16386 // lwoA_0_1_0_0 = (1 + 0*LSCA)*(MT0I+PAD) + (0*LSPA) = 16386
_ds_store_b16 v[vgprLocalWriteAddrA], v[vgprG2LA+1:vgprG2LA+1+0] offset:16512 // lwoA_0_2_0_0 = (2 + 0*LSCA)*(MT0I+PAD) + (0*LSPA) = 16512
_ds_store_b16_d16_hi v[vgprLocalWriteAddrA], v[vgprG2LA+1:vgprG2LA+1+0] offset:16514 // lwoA_0_3_0_0 = (3 + 0*LSCA)*(MT0I+PAD) + (0*LSPA) = 16514
s_waitcnt lgkmcnt(8)                               // lgkmcnt=0 vmcnt=-1wait for prior local read local write old=0, new=8 newLW=0 newLR=0
.align32 8, 0xbf800001                             // align v_pk_fma
MAC_4x4_X1

/* iter 20 */


/* local read a */
_ds_load_b64 v[vgprValuA_X1_I0+0:vgprValuA_X1_I0+0+1], v[vgprLocalReadAddrA] offset:2688 // L -> Reg lro=1344 swapByteOffset=0 ti=8 vIdx=0 rIdx=0 oIdx=0 buffer=1 iui=0

/* local read b */
_ds_load_b64 v[vgprValuB_X1_I0+0:vgprValuB_X1_I0+0+1], v[vgprLocalReadAddrB] offset:5376 // L -> Reg lro=2688 swapByteOffset=0 ti=16 vIdx=0 rIdx=0 oIdx=0 buffer=1 iui=0

/* local read increment a */
/* N/A, lro->1376 */
/* self.localReadDoCntA 0 self.localReadDoCntB 0 */

/* local read increment b */
/* N/A, lro->2752 */
/* self.localReadDoCntA 0 self.localReadDoCntB 0 */

/* local read a */
_ds_load_b64 v[vgprValuA_X1_I1+0:vgprValuA_X1_I1+0+1], v[vgprLocalReadAddrA] offset:2752 // L -> Reg lro=1376 swapByteOffset=0 ti=8 vIdx=0 rIdx=0 oIdx=0 buffer=1 iui=1

/* local read b */
_ds_load_b64 v[vgprValuB_X1_I1+0:vgprValuB_X1_I1+0+1], v[vgprLocalReadAddrB] offset:5504 // L -> Reg lro=2752 swapByteOffset=0 ti=16 vIdx=0 rIdx=0 oIdx=0 buffer=1 iui=1

/* local read increment a */
/* N/A, lro->1408 */
/* self.localReadDoCntA 0 self.localReadDoCntB 0 */

/* local read increment b */
/* N/A, lro->2816 */
/* self.localReadDoCntA 0 self.localReadDoCntB 0 */
/* sched write - iter 20 writesPerItem=4 */
s_waitcnt vmcnt(0)                                 // lgkmcnt=-1 vmcnt=0wait for global read before writing to local
_ds_store_b16 v[vgprLocalWriteAddrA], v[vgprG2LA+2:vgprG2LA+2+0] offset:16400 // lwoA_0_0_1_0 = (0 + 0*LSCA)*(MT0I+PAD) + (1*LSPA) = 16400
_ds_store_b16_d16_hi v[vgprLocalWriteAddrA], v[vgprG2LA+2:vgprG2LA+2+0] offset:16402 // lwoA_0_1_1_0 = (1 + 0*LSCA)*(MT0I+PAD) + (1*LSPA) = 16402
_ds_store_b16 v[vgprLocalWriteAddrA], v[vgprG2LA+3:vgprG2LA+3+0] offset:16528 // lwoA_0_2_1_0 = (2 + 0*LSCA)*(MT0I+PAD) + (1*LSPA) = 16528
_ds_store_b16_d16_hi v[vgprLocalWriteAddrA], v[vgprG2LA+3:vgprG2LA+3+0] offset:16530 // lwoA_0_3_1_0 = (3 + 0*LSCA)*(MT0I+PAD) + (1*LSPA) = 16530
s_waitcnt lgkmcnt(8)                               // lgkmcnt=0 vmcnt=-1wait for prior local read local write old=0, new=8 newLW=0 newLR=0
.align32 8, 0xbf800001                             // align v_pk_fma
MAC_4x4_X0

/* iter 21 */


/* local read a */
_ds_load_b64 v[vgprValuA_X0_I0+0:vgprValuA_X0_I0+0+1], v[vgprLocalReadAddrA] offset:2816 // L -> Reg lro=1408 swapByteOffset=0 ti=8 vIdx=0 rIdx=0 oIdx=0 buffer=0 iui=0

/* local read b */
_ds_load_b64 v[vgprValuB_X0_I0+0:vgprValuB_X0_I0+0+1], v[vgprLocalReadAddrB] offset:5632 // L -> Reg lro=2816 swapByteOffset=0 ti=16 vIdx=0 rIdx=0 oIdx=0 buffer=0 iui=0

/* local read increment a */
/* N/A, lro->1440 */
/* self.localReadDoCntA 0 self.localReadDoCntB 0 */

/* local read increment b */
/* N/A, lro->2880 */
/* self.localReadDoCntA 0 self.localReadDoCntB 0 */

/* local read a */
_ds_load_b64 v[vgprValuA_X0_I1+0:vgprValuA_X0_I1+0+1], v[vgprLocalReadAddrA] offset:2880 // L -> Reg lro=1440 swapByteOffset=0 ti=8 vIdx=0 rIdx=0 oIdx=0 buffer=0 iui=1

/* local read b */
_ds_load_b64 v[vgprValuB_X0_I1+0:vgprValuB_X0_I1+0+1], v[vgprLocalReadAddrB] offset:5760 // L -> Reg lro=2880 swapByteOffset=0 ti=16 vIdx=0 rIdx=0 oIdx=0 buffer=0 iui=1

/* local read increment a */
/* N/A, lro->1472 */
/* self.localReadDoCntA 0 self.localReadDoCntB 0 */

/* local read increment b */
/* N/A, lro->2944 */
/* self.localReadDoCntA 0 self.localReadDoCntB 0 */
/* sched write - iter 21 writesPerItem=4 */
s_waitcnt vmcnt(0)                                 // lgkmcnt=-1 vmcnt=0wait for global read before writing to local
_ds_store_b16 v[vgprLocalWriteAddrA], v[vgprG2LA+4:vgprG2LA+4+0] offset:16416 // lwoA_0_0_2_0 = (0 + 0*LSCA)*(MT0I+PAD) + (2*LSPA) = 16416
_ds_store_b16_d16_hi v[vgprLocalWriteAddrA], v[vgprG2LA+4:vgprG2LA+4+0] offset:16418 // lwoA_0_1_2_0 = (1 + 0*LSCA)*(MT0I+PAD) + (2*LSPA) = 16418
_ds_store_b16 v[vgprLocalWriteAddrA], v[vgprG2LA+5:vgprG2LA+5+0] offset:16544 // lwoA_0_2_2_0 = (2 + 0*LSCA)*(MT0I+PAD) + (2*LSPA) = 16544
_ds_store_b16_d16_hi v[vgprLocalWriteAddrA], v[vgprG2LA+5:vgprG2LA+5+0] offset:16546 // lwoA_0_3_2_0 = (3 + 0*LSCA)*(MT0I+PAD) + (2*LSPA) = 16546
s_waitcnt lgkmcnt(8)                               // lgkmcnt=0 vmcnt=-1wait for prior local read local write old=0, new=8 newLW=0 newLR=0
.align32 8, 0xbf800001                             // align v_pk_fma
MAC_4x4_X1

/* iter 22 */


/* local read a */
_ds_load_b64 v[vgprValuA_X1_I0+0:vgprValuA_X1_I0+0+1], v[vgprLocalReadAddrA] offset:2944 // L -> Reg lro=1472 swapByteOffset=0 ti=8 vIdx=0 rIdx=0 oIdx=0 buffer=1 iui=0

/* local read b */
_ds_load_b64 v[vgprValuB_X1_I0+0:vgprValuB_X1_I0+0+1], v[vgprLocalReadAddrB] offset:5888 // L -> Reg lro=2944 swapByteOffset=0 ti=16 vIdx=0 rIdx=0 oIdx=0 buffer=1 iui=0

/* local read increment a */
/* N/A, lro->1504 */
/* self.localReadDoCntA 0 self.localReadDoCntB 0 */

/* local read increment b */
/* N/A, lro->3008 */
/* self.localReadDoCntA 0 self.localReadDoCntB 0 */

/* local read a */
_ds_load_b64 v[vgprValuA_X1_I1+0:vgprValuA_X1_I1+0+1], v[vgprLocalReadAddrA] offset:3008 // L -> Reg lro=1504 swapByteOffset=0 ti=8 vIdx=0 rIdx=0 oIdx=0 buffer=1 iui=1

/* local read b */
_ds_load_b64 v[vgprValuB_X1_I1+0:vgprValuB_X1_I1+0+1], v[vgprLocalReadAddrB] offset:6016 // L -> Reg lro=3008 swapByteOffset=0 ti=16 vIdx=0 rIdx=0 oIdx=0 buffer=1 iui=1

/* local read increment a */
/* N/A, lro->1536 */
/* self.localReadDoCntA 0 self.localReadDoCntB 0 */

/* local read increment b */
/* N/A, lro->3072 */
/* self.localReadDoCntA 0 self.localReadDoCntB 0 */
/* sched write - iter 22 writesPerItem=4 */
s_waitcnt vmcnt(0)                                 // lgkmcnt=-1 vmcnt=0wait for global read before writing to local
_ds_store_b16 v[vgprLocalWriteAddrA], v[vgprG2LA+6:vgprG2LA+6+0] offset:16432 // lwoA_0_0_3_0 = (0 + 0*LSCA)*(MT0I+PAD) + (3*LSPA) = 16432
_ds_store_b16_d16_hi v[vgprLocalWriteAddrA], v[vgprG2LA+6:vgprG2LA+6+0] offset:16434 // lwoA_0_1_3_0 = (1 + 0*LSCA)*(MT0I+PAD) + (3*LSPA) = 16434
_ds_store_b16 v[vgprLocalWriteAddrA], v[vgprG2LA+7:vgprG2LA+7+0] offset:16560 // lwoA_0_2_3_0 = (2 + 0*LSCA)*(MT0I+PAD) + (3*LSPA) = 16560
_ds_store_b16_d16_hi v[vgprLocalWriteAddrA], v[vgprG2LA+7:vgprG2LA+7+0] offset:16562 // lwoA_0_3_3_0 = (3 + 0*LSCA)*(MT0I+PAD) + (3*LSPA) = 16562
s_waitcnt lgkmcnt(8)                               // lgkmcnt=0 vmcnt=-1wait for prior local read local write old=0, new=8 newLW=0 newLR=0
.align32 8, 0xbf800001                             // align v_pk_fma
MAC_4x4_X0

/* iter 23 */


/* local read a */
_ds_load_b64 v[vgprValuA_X0_I0+0:vgprValuA_X0_I0+0+1], v[vgprLocalReadAddrA] offset:3072 // L -> Reg lro=1536 swapByteOffset=0 ti=8 vIdx=0 rIdx=0 oIdx=0 buffer=0 iui=0

/* local read b */
_ds_load_b64 v[vgprValuB_X0_I0+0:vgprValuB_X0_I0+0+1], v[vgprLocalReadAddrB] offset:6144 // L -> Reg lro=3072 swapByteOffset=0 ti=16 vIdx=0 rIdx=0 oIdx=0 buffer=0 iui=0

/* local read increment a */
/* N/A, lro->1568 */
/* self.localReadDoCntA 0 self.localReadDoCntB 0 */

/* local read increment b */
/* N/A, lro->3136 */
/* self.localReadDoCntA 0 self.localReadDoCntB 0 */

/* local read a */
_ds_load_b64 v[vgprValuA_X0_I1+0:vgprValuA_X0_I1+0+1], v[vgprLocalReadAddrA] offset:3136 // L -> Reg lro=1568 swapByteOffset=0 ti=8 vIdx=0 rIdx=0 oIdx=0 buffer=0 iui=1

/* local read b */
_ds_load_b64 v[vgprValuB_X0_I1+0:vgprValuB_X0_I1+0+1], v[vgprLocalReadAddrB] offset:6272 // L -> Reg lro=3136 swapByteOffset=0 ti=16 vIdx=0 rIdx=0 oIdx=0 buffer=0 iui=1

/* local read increment a */
/* N/A, lro->1600 */
/* self.localReadDoCntA 0 self.localReadDoCntB 0 */

/* local read increment b */
/* N/A, lro->3200 */
/* self.localReadDoCntA 0 self.localReadDoCntB 0 */
/* sched write - iter 23 writesPerItem=4 */
s_waitcnt vmcnt(0)                                 // lgkmcnt=-1 vmcnt=0wait for global read before writing to local
_ds_store_b16 v[vgprLocalWriteAddrB], v[vgprG2LB+0:vgprG2LB+0+0] offset:16384 // lwoB_0_0_0_0 = (0 + 0*LSCB) + (0*LSPB)(*MT1J+PAD) = 16384
_ds_store_b16_d16_hi v[vgprLocalWriteAddrB], v[vgprG2LB+0:vgprG2LB+0+0] offset:16512 // lwoB_0_0_0_1 = (0 + 0*LSCB) + (0*LSPB)(*MT1J+PAD) = 16512
_ds_store_b16 v[vgprLocalWriteAddrB], v[vgprG2LB+1:vgprG2LB+1+0] offset:16388 // lwoB_0_0_0_2 = (0 + 0*LSCB) + (0*LSPB)(*MT1J+PAD) = 16388
_ds_store_b16_d16_hi v[vgprLocalWriteAddrB], v[vgprG2LB+1:vgprG2LB+1+0] offset:16516 // lwoB_0_0_0_3 = (0 + 0*LSCB) + (0*LSPB)(*MT1J+PAD) = 16516
s_waitcnt lgkmcnt(8)                               // lgkmcnt=0 vmcnt=-1wait for prior local read local write old=0, new=8 newLW=0 newLR=0
.align32 8, 0xbf800001                             // align v_pk_fma
MAC_4x4_X1

/* iter 24 */


/* local read a */
_ds_load_b64 v[vgprValuA_X1_I0+0:vgprValuA_X1_I0+0+1], v[vgprLocalReadAddrA] offset:3200 // L -> Reg lro=1600 swapByteOffset=0 ti=8 vIdx=0 rIdx=0 oIdx=0 buffer=1 iui=0

/* local read b */
_ds_load_b64 v[vgprValuB_X1_I0+0:vgprValuB_X1_I0+0+1], v[vgprLocalReadAddrB] offset:6400 // L -> Reg lro=3200 swapByteOffset=0 ti=16 vIdx=0 rIdx=0 oIdx=0 buffer=1 iui=0

/* local read increment a */
/* N/A, lro->1632 */
/* self.localReadDoCntA 0 self.localReadDoCntB 0 */

/* local read increment b */
/* N/A, lro->3264 */
/* self.localReadDoCntA 0 self.localReadDoCntB 0 */

/* local read a */
_ds_load_b64 v[vgprValuA_X1_I1+0:vgprValuA_X1_I1+0+1], v[vgprLocalReadAddrA] offset:3264 // L -> Reg lro=1632 swapByteOffset=0 ti=8 vIdx=0 rIdx=0 oIdx=0 buffer=1 iui=1

/* local read b */
_ds_load_b64 v[vgprValuB_X1_I1+0:vgprValuB_X1_I1+0+1], v[vgprLocalReadAddrB] offset:6528 // L -> Reg lro=3264 swapByteOffset=0 ti=16 vIdx=0 rIdx=0 oIdx=0 buffer=1 iui=1

/* local read increment a */
/* N/A, lro->1664 */
/* self.localReadDoCntA 0 self.localReadDoCntB 0 */

/* local read increment b */
/* N/A, lro->3328 */
/* self.localReadDoCntA 0 self.localReadDoCntB 0 */
/* sched write - iter 24 writesPerItem=4 */
s_waitcnt vmcnt(0)                                 // lgkmcnt=-1 vmcnt=0wait for global read before writing to local
_ds_store_b16 v[vgprLocalWriteAddrB], v[vgprG2LB+2:vgprG2LB+2+0] offset:17408 // lwoB_0_0_1_0 = (0 + 0*LSCB) + (1*LSPB)(*MT1J+PAD) = 17408
_ds_store_b16_d16_hi v[vgprLocalWriteAddrB], v[vgprG2LB+2:vgprG2LB+2+0] offset:17536 // lwoB_0_0_1_1 = (0 + 0*LSCB) + (1*LSPB)(*MT1J+PAD) = 17536
_ds_store_b16 v[vgprLocalWriteAddrB], v[vgprG2LB+3:vgprG2LB+3+0] offset:17412 // lwoB_0_0_1_2 = (0 + 0*LSCB) + (1*LSPB)(*MT1J+PAD) = 17412
_ds_store_b16_d16_hi v[vgprLocalWriteAddrB], v[vgprG2LB+3:vgprG2LB+3+0] offset:17540 // lwoB_0_0_1_3 = (0 + 0*LSCB) + (1*LSPB)(*MT1J+PAD) = 17540
s_waitcnt lgkmcnt(8)                               // lgkmcnt=0 vmcnt=-1wait for prior local read local write old=0, new=8 newLW=0 newLR=0
.align32 8, 0xbf800001                             // align v_pk_fma
MAC_4x4_X0

/* iter 25 */


/* local read a */
_ds_load_b64 v[vgprValuA_X0_I0+0:vgprValuA_X0_I0+0+1], v[vgprLocalReadAddrA] offset:3328 // L -> Reg lro=1664 swapByteOffset=0 ti=8 vIdx=0 rIdx=0 oIdx=0 buffer=0 iui=0

/* local read b */
_ds_load_b64 v[vgprValuB_X0_I0+0:vgprValuB_X0_I0+0+1], v[vgprLocalReadAddrB] offset:6656 // L -> Reg lro=3328 swapByteOffset=0 ti=16 vIdx=0 rIdx=0 oIdx=0 buffer=0 iui=0

/* local read increment a */
/* N/A, lro->1696 */
/* self.localReadDoCntA 0 self.localReadDoCntB 0 */

/* local read increment b */
/* N/A, lro->3392 */
/* self.localReadDoCntA 0 self.localReadDoCntB 0 */

/* local read a */
_ds_load_b64 v[vgprValuA_X0_I1+0:vgprValuA_X0_I1+0+1], v[vgprLocalReadAddrA] offset:3392 // L -> Reg lro=1696 swapByteOffset=0 ti=8 vIdx=0 rIdx=0 oIdx=0 buffer=0 iui=1

/* local read b */
_ds_load_b64 v[vgprValuB_X0_I1+0:vgprValuB_X0_I1+0+1], v[vgprLocalReadAddrB] offset:6784 // L -> Reg lro=3392 swapByteOffset=0 ti=16 vIdx=0 rIdx=0 oIdx=0 buffer=0 iui=1

/* local read increment a */
/* N/A, lro->1728 */
/* self.localReadDoCntA 0 self.localReadDoCntB 0 */

/* local read increment b */
/* N/A, lro->3456 */
/* self.localReadDoCntA 0 self.localReadDoCntB 0 */
/* sched write - iter 25 writesPerItem=4 */
s_waitcnt vmcnt(0)                                 // lgkmcnt=-1 vmcnt=0wait for global read before writing to local
_ds_store_b16 v[vgprLocalWriteAddrB], v[vgprG2LB+4:vgprG2LB+4+0] offset:18432 // lwoB_0_0_2_0 = (0 + 0*LSCB) + (2*LSPB)(*MT1J+PAD) = 18432
_ds_store_b16_d16_hi v[vgprLocalWriteAddrB], v[vgprG2LB+4:vgprG2LB+4+0] offset:18560 // lwoB_0_0_2_1 = (0 + 0*LSCB) + (2*LSPB)(*MT1J+PAD) = 18560
_ds_store_b16 v[vgprLocalWriteAddrB], v[vgprG2LB+5:vgprG2LB+5+0] offset:18436 // lwoB_0_0_2_2 = (0 + 0*LSCB) + (2*LSPB)(*MT1J+PAD) = 18436
_ds_store_b16_d16_hi v[vgprLocalWriteAddrB], v[vgprG2LB+5:vgprG2LB+5+0] offset:18564 // lwoB_0_0_2_3 = (0 + 0*LSCB) + (2*LSPB)(*MT1J+PAD) = 18564
s_waitcnt lgkmcnt(8)                               // lgkmcnt=0 vmcnt=-1wait for prior local read local write old=0, new=8 newLW=0 newLR=0
.align32 8, 0xbf800001                             // align v_pk_fma
MAC_4x4_X1

/* iter 26 */


/* local read a */
_ds_load_b64 v[vgprValuA_X1_I0+0:vgprValuA_X1_I0+0+1], v[vgprLocalReadAddrA] offset:3456 // L -> Reg lro=1728 swapByteOffset=0 ti=8 vIdx=0 rIdx=0 oIdx=0 buffer=1 iui=0

/* local read b */
_ds_load_b64 v[vgprValuB_X1_I0+0:vgprValuB_X1_I0+0+1], v[vgprLocalReadAddrB] offset:6912 // L -> Reg lro=3456 swapByteOffset=0 ti=16 vIdx=0 rIdx=0 oIdx=0 buffer=1 iui=0

/* local read increment a */
/* N/A, lro->1760 */
/* self.localReadDoCntA 0 self.localReadDoCntB 0 */

/* local read increment b */
/* N/A, lro->3520 */
/* self.localReadDoCntA 0 self.localReadDoCntB 0 */

/* local read a */
_ds_load_b64 v[vgprValuA_X1_I1+0:vgprValuA_X1_I1+0+1], v[vgprLocalReadAddrA] offset:3520 // L -> Reg lro=1760 swapByteOffset=0 ti=8 vIdx=0 rIdx=0 oIdx=0 buffer=1 iui=1

/* local read b */
_ds_load_b64 v[vgprValuB_X1_I1+0:vgprValuB_X1_I1+0+1], v[vgprLocalReadAddrB] offset:7040 // L -> Reg lro=3520 swapByteOffset=0 ti=16 vIdx=0 rIdx=0 oIdx=0 buffer=1 iui=1

/* local read increment a */
/* N/A, lro->1792 */
/* self.localReadDoCntA 0 self.localReadDoCntB 0 */

/* local read increment b */
/* N/A, lro->3584 */
/* self.localReadDoCntA 0 self.localReadDoCntB 0 */
/* sched write - iter 26 writesPerItem=4 */
s_waitcnt vmcnt(0)                                 // lgkmcnt=-1 vmcnt=0wait for global read before writing to local
_ds_store_b16 v[vgprLocalWriteAddrB], v[vgprG2LB+6:vgprG2LB+6+0] offset:19456 // lwoB_0_0_3_0 = (0 + 0*LSCB) + (3*LSPB)(*MT1J+PAD) = 19456
_ds_store_b16_d16_hi v[vgprLocalWriteAddrB], v[vgprG2LB+6:vgprG2LB+6+0] offset:19584 // lwoB_0_0_3_1 = (0 + 0*LSCB) + (3*LSPB)(*MT1J+PAD) = 19584
_ds_store_b16 v[vgprLocalWriteAddrB], v[vgprG2LB+7:vgprG2LB+7+0] offset:19460 // lwoB_0_0_3_2 = (0 + 0*LSCB) + (3*LSPB)(*MT1J+PAD) = 19460
_ds_store_b16_d16_hi v[vgprLocalWriteAddrB], v[vgprG2LB+7:vgprG2LB+7+0] offset:19588 // lwoB_0_0_3_3 = (0 + 0*LSCB) + (3*LSPB)(*MT1J+PAD) = 19588
s_waitcnt lgkmcnt(8)                               // lgkmcnt=0 vmcnt=-1wait for prior local read local write old=0, new=8 newLW=0 newLR=0
.align32 8, 0xbf800001                             // align v_pk_fma
MAC_4x4_X0

/* iter 27 */


/* local read a */
_ds_load_b64 v[vgprValuA_X0_I0+0:vgprValuA_X0_I0+0+1], v[vgprLocalReadAddrA] offset:3584 // L -> Reg lro=1792 swapByteOffset=0 ti=8 vIdx=0 rIdx=0 oIdx=0 buffer=0 iui=0

/* local read b */
_ds_load_b64 v[vgprValuB_X0_I0+0:vgprValuB_X0_I0+0+1], v[vgprLocalReadAddrB] offset:7168 // L -> Reg lro=3584 swapByteOffset=0 ti=16 vIdx=0 rIdx=0 oIdx=0 buffer=0 iui=0

/* local read increment a */
/* N/A, lro->1824 */
/* self.localReadDoCntA 0 self.localReadDoCntB 0 */

/* local read increment b */
/* N/A, lro->3648 */
/* self.localReadDoCntA 0 self.localReadDoCntB 0 */

/* local read a */
_ds_load_b64 v[vgprValuA_X0_I1+0:vgprValuA_X0_I1+0+1], v[vgprLocalReadAddrA] offset:3648 // L -> Reg lro=1824 swapByteOffset=0 ti=8 vIdx=0 rIdx=0 oIdx=0 buffer=0 iui=1

/* local read b */
_ds_load_b64 v[vgprValuB_X0_I1+0:vgprValuB_X0_I1+0+1], v[vgprLocalReadAddrB] offset:7296 // L -> Reg lro=3648 swapByteOffset=0 ti=16 vIdx=0 rIdx=0 oIdx=0 buffer=0 iui=1

/* local read increment a */
/* N/A, lro->1856 */
/* self.localReadDoCntA 0 self.localReadDoCntB 0 */

/* local read increment b */
/* N/A, lro->3712 */
/* self.localReadDoCntA 0 self.localReadDoCntB 0 */
/* sched write - iter 27 writesPerItem=4 */
s_waitcnt vmcnt(0)                                 // lgkmcnt=-1 vmcnt=0wait for global read before writing to local
_ds_store_b16 v[vgprLocalWriteAddrB], v[vgprG2LB+8:vgprG2LB+8+0] offset:20480 // lwoB_0_0_4_0 = (0 + 0*LSCB) + (4*LSPB)(*MT1J+PAD) = 20480
_ds_store_b16_d16_hi v[vgprLocalWriteAddrB], v[vgprG2LB+8:vgprG2LB+8+0] offset:20608 // lwoB_0_0_4_1 = (0 + 0*LSCB) + (4*LSPB)(*MT1J+PAD) = 20608
_ds_store_b16 v[vgprLocalWriteAddrB], v[vgprG2LB+9:vgprG2LB+9+0] offset:20484 // lwoB_0_0_4_2 = (0 + 0*LSCB) + (4*LSPB)(*MT1J+PAD) = 20484
_ds_store_b16_d16_hi v[vgprLocalWriteAddrB], v[vgprG2LB+9:vgprG2LB+9+0] offset:20612 // lwoB_0_0_4_3 = (0 + 0*LSCB) + (4*LSPB)(*MT1J+PAD) = 20612
s_waitcnt lgkmcnt(8)                               // lgkmcnt=0 vmcnt=-1wait for prior local read local write old=0, new=8 newLW=0 newLR=0
.align32 8, 0xbf800001                             // align v_pk_fma
MAC_4x4_X1

/* iter 28 */


/* local read a */
_ds_load_b64 v[vgprValuA_X1_I0+0:vgprValuA_X1_I0+0+1], v[vgprLocalReadAddrA] offset:3712 // L -> Reg lro=1856 swapByteOffset=0 ti=8 vIdx=0 rIdx=0 oIdx=0 buffer=1 iui=0

/* local read b */
_ds_load_b64 v[vgprValuB_X1_I0+0:vgprValuB_X1_I0+0+1], v[vgprLocalReadAddrB] offset:7424 // L -> Reg lro=3712 swapByteOffset=0 ti=16 vIdx=0 rIdx=0 oIdx=0 buffer=1 iui=0

/* local read increment a */
/* N/A, lro->1888 */
/* self.localReadDoCntA 0 self.localReadDoCntB 0 */

/* local read increment b */
/* N/A, lro->3776 */
/* self.localReadDoCntA 0 self.localReadDoCntB 0 */

/* local read a */
_ds_load_b64 v[vgprValuA_X1_I1+0:vgprValuA_X1_I1+0+1], v[vgprLocalReadAddrA] offset:3776 // L -> Reg lro=1888 swapByteOffset=0 ti=8 vIdx=0 rIdx=0 oIdx=0 buffer=1 iui=1

/* local read b */
_ds_load_b64 v[vgprValuB_X1_I1+0:vgprValuB_X1_I1+0+1], v[vgprLocalReadAddrB] offset:7552 // L -> Reg lro=3776 swapByteOffset=0 ti=16 vIdx=0 rIdx=0 oIdx=0 buffer=1 iui=1

/* local read increment a */
/* N/A, lro->1920 */
/* self.localReadDoCntA 0 self.localReadDoCntB 0 */

/* local read increment b */
/* N/A, lro->3840 */
/* self.localReadDoCntA 0 self.localReadDoCntB 0 */
/* sched write - iter 28 writesPerItem=4 */
s_waitcnt vmcnt(0)                                 // lgkmcnt=-1 vmcnt=0wait for global read before writing to local
_ds_store_b16 v[vgprLocalWriteAddrB], v[vgprG2LB+10:vgprG2LB+10+0] offset:21504 // lwoB_0_0_5_0 = (0 + 0*LSCB) + (5*LSPB)(*MT1J+PAD) = 21504
_ds_store_b16_d16_hi v[vgprLocalWriteAddrB], v[vgprG2LB+10:vgprG2LB+10+0] offset:21632 // lwoB_0_0_5_1 = (0 + 0*LSCB) + (5*LSPB)(*MT1J+PAD) = 21632
_ds_store_b16 v[vgprLocalWriteAddrB], v[vgprG2LB+11:vgprG2LB+11+0] offset:21508 // lwoB_0_0_5_2 = (0 + 0*LSCB) + (5*LSPB)(*MT1J+PAD) = 21508
_ds_store_b16_d16_hi v[vgprLocalWriteAddrB], v[vgprG2LB+11:vgprG2LB+11+0] offset:21636 // lwoB_0_0_5_3 = (0 + 0*LSCB) + (5*LSPB)(*MT1J+PAD) = 21636
s_waitcnt lgkmcnt(8)                               // lgkmcnt=0 vmcnt=-1wait for prior local read local write old=0, new=8 newLW=0 newLR=0
.align32 8, 0xbf800001                             // align v_pk_fma
MAC_4x4_X0

/* iter 29 */


/* local read a */
_ds_load_b64 v[vgprValuA_X0_I0+0:vgprValuA_X0_I0+0+1], v[vgprLocalReadAddrA] offset:3840 // L -> Reg lro=1920 swapByteOffset=0 ti=8 vIdx=0 rIdx=0 oIdx=0 buffer=0 iui=0

/* local read b */
_ds_load_b64 v[vgprValuB_X0_I0+0:vgprValuB_X0_I0+0+1], v[vgprLocalReadAddrB] offset:7680 // L -> Reg lro=3840 swapByteOffset=0 ti=16 vIdx=0 rIdx=0 oIdx=0 buffer=0 iui=0

/* local read increment a */
/* N/A, lro->1952 */
/* self.localReadDoCntA 0 self.localReadDoCntB 0 */

/* local read increment b */
/* N/A, lro->3904 */
/* self.localReadDoCntA 0 self.localReadDoCntB 0 */

/* local read a */
_ds_load_b64 v[vgprValuA_X0_I1+0:vgprValuA_X0_I1+0+1], v[vgprLocalReadAddrA] offset:3904 // L -> Reg lro=1952 swapByteOffset=0 ti=8 vIdx=0 rIdx=0 oIdx=0 buffer=0 iui=1

/* local read b */
_ds_load_b64 v[vgprValuB_X0_I1+0:vgprValuB_X0_I1+0+1], v[vgprLocalReadAddrB] offset:7808 // L -> Reg lro=3904 swapByteOffset=0 ti=16 vIdx=0 rIdx=0 oIdx=0 buffer=0 iui=1

/* local read increment a */
/* N/A, lro->1984 */
/* self.localReadDoCntA 0 self.localReadDoCntB 0 */

/* local read increment b */
/* N/A, lro->3968 */
/* self.localReadDoCntA 0 self.localReadDoCntB 0 */
/* sched write - iter 29 writesPerItem=4 */
s_waitcnt vmcnt(0)                                 // lgkmcnt=-1 vmcnt=0wait for global read before writing to local
_ds_store_b16 v[vgprLocalWriteAddrB], v[vgprG2LB+12:vgprG2LB+12+0] offset:22528 // lwoB_0_0_6_0 = (0 + 0*LSCB) + (6*LSPB)(*MT1J+PAD) = 22528
_ds_store_b16_d16_hi v[vgprLocalWriteAddrB], v[vgprG2LB+12:vgprG2LB+12+0] offset:22656 // lwoB_0_0_6_1 = (0 + 0*LSCB) + (6*LSPB)(*MT1J+PAD) = 22656
_ds_store_b16 v[vgprLocalWriteAddrB], v[vgprG2LB+13:vgprG2LB+13+0] offset:22532 // lwoB_0_0_6_2 = (0 + 0*LSCB) + (6*LSPB)(*MT1J+PAD) = 22532
_ds_store_b16_d16_hi v[vgprLocalWriteAddrB], v[vgprG2LB+13:vgprG2LB+13+0] offset:22660 // lwoB_0_0_6_3 = (0 + 0*LSCB) + (6*LSPB)(*MT1J+PAD) = 22660
s_waitcnt lgkmcnt(8)                               // lgkmcnt=0 vmcnt=-1wait for prior local read local write old=0, new=8 newLW=0 newLR=0
.align32 8, 0xbf800001                             // align v_pk_fma
MAC_4x4_X1

/* iter 30 (reset local read pointers iteration)  (swap and reset local write pointers iteration)  (swap local read pointers iteration)  */


/* local read a */
_ds_load_b64 v[vgprValuA_X1_I0+0:vgprValuA_X1_I0+0+1], v[vgprLocalReadAddrA] offset:3968 // L -> Reg lro=1984 swapByteOffset=0 ti=8 vIdx=0 rIdx=0 oIdx=0 buffer=1 iui=0

/* local read b */
_ds_load_b64 v[vgprValuB_X1_I0+0:vgprValuB_X1_I0+0+1], v[vgprLocalReadAddrB] offset:7936 // L -> Reg lro=3968 swapByteOffset=0 ti=16 vIdx=0 rIdx=0 oIdx=0 buffer=1 iui=0

/* local read increment a */
/* N/A, lro->2016 */
/* self.localReadDoCntA 0 self.localReadDoCntB 0 */

/* local read increment b */
/* N/A, lro->4032 */
/* self.localReadDoCntA 0 self.localReadDoCntB 0 */

/* local read a */
_ds_load_b64 v[vgprValuA_X1_I1+0:vgprValuA_X1_I1+0+1], v[vgprLocalReadAddrA] offset:4032 // L -> Reg lro=2016 swapByteOffset=0 ti=8 vIdx=0 rIdx=0 oIdx=0 buffer=1 iui=1

/* local read b */
_ds_load_b64 v[vgprValuB_X1_I1+0:vgprValuB_X1_I1+0+1], v[vgprLocalReadAddrB] offset:8064 // L -> Reg lro=4032 swapByteOffset=0 ti=16 vIdx=0 rIdx=0 oIdx=0 buffer=1 iui=1
/* sched write - iter 30 writesPerItem=4 */
s_waitcnt vmcnt(0)                                 // lgkmcnt=-1 vmcnt=0wait for global read before writing to local
_ds_store_b16 v[vgprLocalWriteAddrB], v[vgprG2LB+14:vgprG2LB+14+0] offset:23552 // lwoB_0_0_7_0 = (0 + 0*LSCB) + (7*LSPB)(*MT1J+PAD) = 23552
_ds_store_b16_d16_hi v[vgprLocalWriteAddrB], v[vgprG2LB+14:vgprG2LB+14+0] offset:23680 // lwoB_0_0_7_1 = (0 + 0*LSCB) + (7*LSPB)(*MT1J+PAD) = 23680
_ds_store_b16 v[vgprLocalWriteAddrB], v[vgprG2LB+15:vgprG2LB+15+0] offset:23556 // lwoB_0_0_7_2 = (0 + 0*LSCB) + (7*LSPB)(*MT1J+PAD) = 23556
_ds_store_b16_d16_hi v[vgprLocalWriteAddrB], v[vgprG2LB+15:vgprG2LB+15+0] offset:23684 // lwoB_0_0_7_3 = (0 + 0*LSCB) + (7*LSPB)(*MT1J+PAD) = 23684

/* local write swap offsets a */

/* (EPS=1) local write swap internal offset -> 0 */

/* local write swap offsets b */

/* (EPS=1) local write swap internal offset -> 0 */

/* local read swap offsets a */

/* local read swap internal offset -> 16384 */

/* local read swap offsets b */

/* local read swap internal offset -> 16384 */

/* local read init pointers a */

/* localReadInitPointers */

/* local read init pointers b */

/* localReadInitPointers */
s_waitcnt lgkmcnt(8)                               // lgkmcnt=0 vmcnt=-1wait for prior local read local write old=0, new=8 newLW=0 newLR=0
.align32 8, 0xbf800001                             // align v_pk_fma
MAC_4x4_X0

/* iter 31 */

s_waitcnt lgkmcnt(0)                               // lgkmcnt=0 vmcnt=-13wait for local write
s_waitcnt lgkmcnt(0) & vmcnt(0)                    // force waitcnt0
s_barrier //

/* local read a */
_ds_load_b64 v[vgprValuA_X0_I0+0:vgprValuA_X0_I0+0+1], v[vgprLocalReadAddrA] offset:16384 // L -> Reg lro=0 swapByteOffset=16384 ti=8 vIdx=0 rIdx=0 oIdx=0 buffer=0 iui=0

/* local read b */
_ds_load_b64 v[vgprValuB_X0_I0+0:vgprValuB_X0_I0+0+1], v[vgprLocalReadAddrB] offset:16384 // L -> Reg lro=0 swapByteOffset=16384 ti=16 vIdx=0 rIdx=0 oIdx=0 buffer=0 iui=0

/* local read increment a */
/* N/A, lro->32 */
/* self.localReadDoCntA 0 self.localReadDoCntB 0 */

/* local read increment b */
/* N/A, lro->64 */
/* self.localReadDoCntA 0 self.localReadDoCntB 0 */

/* local read a */
_ds_load_b64 v[vgprValuA_X0_I1+0:vgprValuA_X0_I1+0+1], v[vgprLocalReadAddrA] offset:16448 // L -> Reg lro=32 swapByteOffset=16384 ti=8 vIdx=0 rIdx=0 oIdx=0 buffer=0 iui=1

/* local read b */
_ds_load_b64 v[vgprValuB_X0_I1+0:vgprValuB_X0_I1+0+1], v[vgprLocalReadAddrB] offset:16512 // L -> Reg lro=64 swapByteOffset=16384 ti=16 vIdx=0 rIdx=0 oIdx=0 buffer=0 iui=1

/* local read increment a */
/* N/A, lro->64 */
/* self.localReadDoCntA 0 self.localReadDoCntB 0 */

/* local read increment b */
/* N/A, lro->128 */
/* self.localReadDoCntA 0 self.localReadDoCntB 0 */
s_waitcnt lgkmcnt(4)                               // lgkmcnt=0 vmcnt=-1wait for prior local read local write old=0, new=4 newLW=0 newLR=0
.align32 8, 0xbf800001                             // align v_pk_fma
MAC_4x4_X1

/******************************************/
/* Unrolled Loop - End 1/2                */
/******************************************/


/* closeLoop loopL finalLoop=0 tailLoop=0 */
s_sub_u32 s[sgprLoopCounterL], s[sgprLoopCounterL], 1 // dec counterL
s_cmp_eq_i32 s[sgprLoopCounterL], 0x1              // counterL==1
s_cbranch_scc1 LoopEndL_oddexit_3                  // exit LoopL


/******************************************/
/* Unrolled Loop 2/2 - Begin              */
/******************************************/

label_0016: // LoopCopy2 


/* Begin Each Unroll: Check VGPR.checkin for INT8 LW */



/* iter 0 */


/* local read a */
_ds_load_b64 v[vgprValuA_X1_I0+0:vgprValuA_X1_I0+0+1], v[vgprLocalReadAddrA] offset:16512 // L -> Reg lro=64 swapByteOffset=16384 ti=8 vIdx=0 rIdx=0 oIdx=0 buffer=1 iui=0

/* local read b */
_ds_load_b64 v[vgprValuB_X1_I0+0:vgprValuB_X1_I0+0+1], v[vgprLocalReadAddrB] offset:16640 // L -> Reg lro=128 swapByteOffset=16384 ti=16 vIdx=0 rIdx=0 oIdx=0 buffer=1 iui=0
_buffer_load_b64 v[vgprG2LA+0:vgprG2LA+0+1], v[vgprGlobalReadOffsetA+0], s[sgprSrdA:sgprSrdA+3], 0, offen offset:0 // G -> Reg 0_0_0_0

/* local read increment a */
/* N/A, lro->96 */
/* self.localReadDoCntA 0 self.localReadDoCntB 0 */

/* local read increment b */
/* N/A, lro->192 */
/* self.localReadDoCntA 0 self.localReadDoCntB 0 */

/* local read a */
_ds_load_b64 v[vgprValuA_X1_I1+0:vgprValuA_X1_I1+0+1], v[vgprLocalReadAddrA] offset:16576 // L -> Reg lro=96 swapByteOffset=16384 ti=8 vIdx=0 rIdx=0 oIdx=0 buffer=1 iui=1

/* local read b */
_ds_load_b64 v[vgprValuB_X1_I1+0:vgprValuB_X1_I1+0+1], v[vgprLocalReadAddrB] offset:16768 // L -> Reg lro=192 swapByteOffset=16384 ti=16 vIdx=0 rIdx=0 oIdx=0 buffer=1 iui=1

/* local read increment a */
/* N/A, lro->128 */
/* self.localReadDoCntA 0 self.localReadDoCntB 0 */

/* local read increment b */
/* N/A, lro->256 */
/* self.localReadDoCntA 0 self.localReadDoCntB 0 */
s_waitcnt lgkmcnt(4)                               // lgkmcnt=0 vmcnt=-1wait for prior local read local write old=0, new=4 newLW=0 newLR=0
.align32 8, 0xbf800001                             // align v_pk_fma
MAC_4x4_X0

/* iter 1 */


/* local read a */
_ds_load_b64 v[vgprValuA_X0_I0+0:vgprValuA_X0_I0+0+1], v[vgprLocalReadAddrA] offset:16640 // L -> Reg lro=128 swapByteOffset=16384 ti=8 vIdx=0 rIdx=0 oIdx=0 buffer=0 iui=0

/* local read b */
_ds_load_b64 v[vgprValuB_X0_I0+0:vgprValuB_X0_I0+0+1], v[vgprLocalReadAddrB] offset:16896 // L -> Reg lro=256 swapByteOffset=16384 ti=16 vIdx=0 rIdx=0 oIdx=0 buffer=0 iui=0
_buffer_load_b64 v[vgprG2LA+2:vgprG2LA+2+1], v[vgprGlobalReadOffsetA+1], s[sgprSrdA:sgprSrdA+3], 0, offen offset:0 // G -> Reg 0_0_1_0

/* local read increment a */
/* N/A, lro->160 */
/* self.localReadDoCntA 0 self.localReadDoCntB 0 */

/* local read increment b */
/* N/A, lro->320 */
/* self.localReadDoCntA 0 self.localReadDoCntB 0 */

/* local read a */
_ds_load_b64 v[vgprValuA_X0_I1+0:vgprValuA_X0_I1+0+1], v[vgprLocalReadAddrA] offset:16704 // L -> Reg lro=160 swapByteOffset=16384 ti=8 vIdx=0 rIdx=0 oIdx=0 buffer=0 iui=1

/* local read b */
_ds_load_b64 v[vgprValuB_X0_I1+0:vgprValuB_X0_I1+0+1], v[vgprLocalReadAddrB] offset:17024 // L -> Reg lro=320 swapByteOffset=16384 ti=16 vIdx=0 rIdx=0 oIdx=0 buffer=0 iui=1

/* local read increment a */
/* N/A, lro->192 */
/* self.localReadDoCntA 0 self.localReadDoCntB 0 */

/* local read increment b */
/* N/A, lro->384 */
/* self.localReadDoCntA 0 self.localReadDoCntB 0 */
s_waitcnt lgkmcnt(4)                               // lgkmcnt=0 vmcnt=-1wait for prior local read local write old=0, new=4 newLW=0 newLR=0
.align32 8, 0xbf800001                             // align v_pk_fma
MAC_4x4_X1

/* iter 2 */


/* local read a */
_ds_load_b64 v[vgprValuA_X1_I0+0:vgprValuA_X1_I0+0+1], v[vgprLocalReadAddrA] offset:16768 // L -> Reg lro=192 swapByteOffset=16384 ti=8 vIdx=0 rIdx=0 oIdx=0 buffer=1 iui=0

/* local read b */
_ds_load_b64 v[vgprValuB_X1_I0+0:vgprValuB_X1_I0+0+1], v[vgprLocalReadAddrB] offset:17152 // L -> Reg lro=384 swapByteOffset=16384 ti=16 vIdx=0 rIdx=0 oIdx=0 buffer=1 iui=0
_buffer_load_b64 v[vgprG2LA+4:vgprG2LA+4+1], v[vgprGlobalReadOffsetA+2], s[sgprSrdA:sgprSrdA+3], 0, offen offset:0 // G -> Reg 0_0_2_0

/* local read increment a */
/* N/A, lro->224 */
/* self.localReadDoCntA 0 self.localReadDoCntB 0 */

/* local read increment b */
/* N/A, lro->448 */
/* self.localReadDoCntA 0 self.localReadDoCntB 0 */

/* local read a */
_ds_load_b64 v[vgprValuA_X1_I1+0:vgprValuA_X1_I1+0+1], v[vgprLocalReadAddrA] offset:16832 // L -> Reg lro=224 swapByteOffset=16384 ti=8 vIdx=0 rIdx=0 oIdx=0 buffer=1 iui=1

/* local read b */
_ds_load_b64 v[vgprValuB_X1_I1+0:vgprValuB_X1_I1+0+1], v[vgprLocalReadAddrB] offset:17280 // L -> Reg lro=448 swapByteOffset=16384 ti=16 vIdx=0 rIdx=0 oIdx=0 buffer=1 iui=1

/* local read increment a */
/* N/A, lro->256 */
/* self.localReadDoCntA 0 self.localReadDoCntB 0 */

/* local read increment b */
/* N/A, lro->512 */
/* self.localReadDoCntA 0 self.localReadDoCntB 0 */
s_waitcnt lgkmcnt(4)                               // lgkmcnt=0 vmcnt=-1wait for prior local read local write old=0, new=4 newLW=0 newLR=0
.align32 8, 0xbf800001                             // align v_pk_fma
MAC_4x4_X0

/* iter 3 */


/* local read a */
_ds_load_b64 v[vgprValuA_X0_I0+0:vgprValuA_X0_I0+0+1], v[vgprLocalReadAddrA] offset:16896 // L -> Reg lro=256 swapByteOffset=16384 ti=8 vIdx=0 rIdx=0 oIdx=0 buffer=0 iui=0

/* local read b */
_ds_load_b64 v[vgprValuB_X0_I0+0:vgprValuB_X0_I0+0+1], v[vgprLocalReadAddrB] offset:17408 // L -> Reg lro=512 swapByteOffset=16384 ti=16 vIdx=0 rIdx=0 oIdx=0 buffer=0 iui=0
_buffer_load_b64 v[vgprG2LA+6:vgprG2LA+6+1], v[vgprGlobalReadOffsetA+3], s[sgprSrdA:sgprSrdA+3], 0, offen offset:0 // G -> Reg 0_0_3_0

/* local read increment a */
/* N/A, lro->288 */
/* self.localReadDoCntA 0 self.localReadDoCntB 0 */

/* local read increment b */
/* N/A, lro->576 */
/* self.localReadDoCntA 0 self.localReadDoCntB 0 */

/* local read a */
_ds_load_b64 v[vgprValuA_X0_I1+0:vgprValuA_X0_I1+0+1], v[vgprLocalReadAddrA] offset:16960 // L -> Reg lro=288 swapByteOffset=16384 ti=8 vIdx=0 rIdx=0 oIdx=0 buffer=0 iui=1

/* local read b */
_ds_load_b64 v[vgprValuB_X0_I1+0:vgprValuB_X0_I1+0+1], v[vgprLocalReadAddrB] offset:17536 // L -> Reg lro=576 swapByteOffset=16384 ti=16 vIdx=0 rIdx=0 oIdx=0 buffer=0 iui=1

/* local read increment a */
/* N/A, lro->320 */
/* self.localReadDoCntA 0 self.localReadDoCntB 0 */

/* local read increment b */
/* N/A, lro->640 */
/* self.localReadDoCntA 0 self.localReadDoCntB 0 */
s_waitcnt lgkmcnt(4)                               // lgkmcnt=0 vmcnt=-1wait for prior local read local write old=0, new=4 newLW=0 newLR=0
.align32 8, 0xbf800001                             // align v_pk_fma
MAC_4x4_X1

/* iter 4 */


/* local read a */
_ds_load_b64 v[vgprValuA_X1_I0+0:vgprValuA_X1_I0+0+1], v[vgprLocalReadAddrA] offset:17024 // L -> Reg lro=320 swapByteOffset=16384 ti=8 vIdx=0 rIdx=0 oIdx=0 buffer=1 iui=0

/* local read b */
_ds_load_b64 v[vgprValuB_X1_I0+0:vgprValuB_X1_I0+0+1], v[vgprLocalReadAddrB] offset:17664 // L -> Reg lro=640 swapByteOffset=16384 ti=16 vIdx=0 rIdx=0 oIdx=0 buffer=1 iui=0
_buffer_load_b64 v[vgprG2LB+0:vgprG2LB+0+1], v[vgprGlobalReadOffsetB+0], s[sgprSrdB:sgprSrdB+3], 0, offen offset:0 // G -> Reg 0_0_0_0

/* local read increment a */
/* N/A, lro->352 */
/* self.localReadDoCntA 0 self.localReadDoCntB 0 */

/* local read increment b */
/* N/A, lro->704 */
/* self.localReadDoCntA 0 self.localReadDoCntB 0 */

/* local read a */
_ds_load_b64 v[vgprValuA_X1_I1+0:vgprValuA_X1_I1+0+1], v[vgprLocalReadAddrA] offset:17088 // L -> Reg lro=352 swapByteOffset=16384 ti=8 vIdx=0 rIdx=0 oIdx=0 buffer=1 iui=1

/* local read b */
_ds_load_b64 v[vgprValuB_X1_I1+0:vgprValuB_X1_I1+0+1], v[vgprLocalReadAddrB] offset:17792 // L -> Reg lro=704 swapByteOffset=16384 ti=16 vIdx=0 rIdx=0 oIdx=0 buffer=1 iui=1

/* local read increment a */
/* N/A, lro->384 */
/* self.localReadDoCntA 0 self.localReadDoCntB 0 */

/* local read increment b */
/* N/A, lro->768 */
/* self.localReadDoCntA 0 self.localReadDoCntB 0 */
s_waitcnt lgkmcnt(4)                               // lgkmcnt=0 vmcnt=-1wait for prior local read local write old=0, new=4 newLW=0 newLR=0
.align32 8, 0xbf800001                             // align v_pk_fma
MAC_4x4_X0

/* iter 5 */


/* local read a */
_ds_load_b64 v[vgprValuA_X0_I0+0:vgprValuA_X0_I0+0+1], v[vgprLocalReadAddrA] offset:17152 // L -> Reg lro=384 swapByteOffset=16384 ti=8 vIdx=0 rIdx=0 oIdx=0 buffer=0 iui=0

/* local read b */
_ds_load_b64 v[vgprValuB_X0_I0+0:vgprValuB_X0_I0+0+1], v[vgprLocalReadAddrB] offset:17920 // L -> Reg lro=768 swapByteOffset=16384 ti=16 vIdx=0 rIdx=0 oIdx=0 buffer=0 iui=0
_buffer_load_b64 v[vgprG2LB+2:vgprG2LB+2+1], v[vgprGlobalReadOffsetB+1], s[sgprSrdB:sgprSrdB+3], 0, offen offset:0 // G -> Reg 0_0_1_0

/* local read increment a */
/* N/A, lro->416 */
/* self.localReadDoCntA 0 self.localReadDoCntB 0 */

/* local read increment b */
/* N/A, lro->832 */
/* self.localReadDoCntA 0 self.localReadDoCntB 0 */

/* local read a */
_ds_load_b64 v[vgprValuA_X0_I1+0:vgprValuA_X0_I1+0+1], v[vgprLocalReadAddrA] offset:17216 // L -> Reg lro=416 swapByteOffset=16384 ti=8 vIdx=0 rIdx=0 oIdx=0 buffer=0 iui=1

/* local read b */
_ds_load_b64 v[vgprValuB_X0_I1+0:vgprValuB_X0_I1+0+1], v[vgprLocalReadAddrB] offset:18048 // L -> Reg lro=832 swapByteOffset=16384 ti=16 vIdx=0 rIdx=0 oIdx=0 buffer=0 iui=1

/* local read increment a */
/* N/A, lro->448 */
/* self.localReadDoCntA 0 self.localReadDoCntB 0 */

/* local read increment b */
/* N/A, lro->896 */
/* self.localReadDoCntA 0 self.localReadDoCntB 0 */
s_waitcnt lgkmcnt(4)                               // lgkmcnt=0 vmcnt=-1wait for prior local read local write old=0, new=4 newLW=0 newLR=0
.align32 8, 0xbf800001                             // align v_pk_fma
MAC_4x4_X1

/* iter 6 */


/* local read a */
_ds_load_b64 v[vgprValuA_X1_I0+0:vgprValuA_X1_I0+0+1], v[vgprLocalReadAddrA] offset:17280 // L -> Reg lro=448 swapByteOffset=16384 ti=8 vIdx=0 rIdx=0 oIdx=0 buffer=1 iui=0

/* local read b */
_ds_load_b64 v[vgprValuB_X1_I0+0:vgprValuB_X1_I0+0+1], v[vgprLocalReadAddrB] offset:18176 // L -> Reg lro=896 swapByteOffset=16384 ti=16 vIdx=0 rIdx=0 oIdx=0 buffer=1 iui=0
_buffer_load_b64 v[vgprG2LB+4:vgprG2LB+4+1], v[vgprGlobalReadOffsetB+2], s[sgprSrdB:sgprSrdB+3], 0, offen offset:0 // G -> Reg 0_0_2_0

/* local read increment a */
/* N/A, lro->480 */
/* self.localReadDoCntA 0 self.localReadDoCntB 0 */

/* local read increment b */
/* N/A, lro->960 */
/* self.localReadDoCntA 0 self.localReadDoCntB 0 */

/* local read a */
_ds_load_b64 v[vgprValuA_X1_I1+0:vgprValuA_X1_I1+0+1], v[vgprLocalReadAddrA] offset:17344 // L -> Reg lro=480 swapByteOffset=16384 ti=8 vIdx=0 rIdx=0 oIdx=0 buffer=1 iui=1

/* local read b */
_ds_load_b64 v[vgprValuB_X1_I1+0:vgprValuB_X1_I1+0+1], v[vgprLocalReadAddrB] offset:18304 // L -> Reg lro=960 swapByteOffset=16384 ti=16 vIdx=0 rIdx=0 oIdx=0 buffer=1 iui=1

/* local read increment a */
/* N/A, lro->512 */
/* self.localReadDoCntA 0 self.localReadDoCntB 0 */

/* local read increment b */
/* N/A, lro->1024 */
/* self.localReadDoCntA 0 self.localReadDoCntB 0 */
s_waitcnt lgkmcnt(4)                               // lgkmcnt=0 vmcnt=-1wait for prior local read local write old=0, new=4 newLW=0 newLR=0
.align32 8, 0xbf800001                             // align v_pk_fma
MAC_4x4_X0

/* iter 7 */


/* local read a */
_ds_load_b64 v[vgprValuA_X0_I0+0:vgprValuA_X0_I0+0+1], v[vgprLocalReadAddrA] offset:17408 // L -> Reg lro=512 swapByteOffset=16384 ti=8 vIdx=0 rIdx=0 oIdx=0 buffer=0 iui=0

/* local read b */
_ds_load_b64 v[vgprValuB_X0_I0+0:vgprValuB_X0_I0+0+1], v[vgprLocalReadAddrB] offset:18432 // L -> Reg lro=1024 swapByteOffset=16384 ti=16 vIdx=0 rIdx=0 oIdx=0 buffer=0 iui=0
_buffer_load_b64 v[vgprG2LB+6:vgprG2LB+6+1], v[vgprGlobalReadOffsetB+3], s[sgprSrdB:sgprSrdB+3], 0, offen offset:0 // G -> Reg 0_0_3_0

/* local read increment a */
/* N/A, lro->544 */
/* self.localReadDoCntA 0 self.localReadDoCntB 0 */

/* local read increment b */
/* N/A, lro->1088 */
/* self.localReadDoCntA 0 self.localReadDoCntB 0 */

/* local read a */
_ds_load_b64 v[vgprValuA_X0_I1+0:vgprValuA_X0_I1+0+1], v[vgprLocalReadAddrA] offset:17472 // L -> Reg lro=544 swapByteOffset=16384 ti=8 vIdx=0 rIdx=0 oIdx=0 buffer=0 iui=1

/* local read b */
_ds_load_b64 v[vgprValuB_X0_I1+0:vgprValuB_X0_I1+0+1], v[vgprLocalReadAddrB] offset:18560 // L -> Reg lro=1088 swapByteOffset=16384 ti=16 vIdx=0 rIdx=0 oIdx=0 buffer=0 iui=1

/* local read increment a */
/* N/A, lro->576 */
/* self.localReadDoCntA 0 self.localReadDoCntB 0 */

/* local read increment b */
/* N/A, lro->1152 */
/* self.localReadDoCntA 0 self.localReadDoCntB 0 */
s_waitcnt lgkmcnt(4)                               // lgkmcnt=0 vmcnt=-1wait for prior local read local write old=0, new=4 newLW=0 newLR=0
.align32 8, 0xbf800001                             // align v_pk_fma
MAC_4x4_X1

/* iter 8 */


/* local read a */
_ds_load_b64 v[vgprValuA_X1_I0+0:vgprValuA_X1_I0+0+1], v[vgprLocalReadAddrA] offset:17536 // L -> Reg lro=576 swapByteOffset=16384 ti=8 vIdx=0 rIdx=0 oIdx=0 buffer=1 iui=0

/* local read b */
_ds_load_b64 v[vgprValuB_X1_I0+0:vgprValuB_X1_I0+0+1], v[vgprLocalReadAddrB] offset:18688 // L -> Reg lro=1152 swapByteOffset=16384 ti=16 vIdx=0 rIdx=0 oIdx=0 buffer=1 iui=0
_buffer_load_b64 v[vgprG2LB+8:vgprG2LB+8+1], v[vgprGlobalReadOffsetB+4], s[sgprSrdB:sgprSrdB+3], 0, offen offset:0 // G -> Reg 0_0_4_0

/* local read increment a */
/* N/A, lro->608 */
/* self.localReadDoCntA 0 self.localReadDoCntB 0 */

/* local read increment b */
/* N/A, lro->1216 */
/* self.localReadDoCntA 0 self.localReadDoCntB 0 */

/* local read a */
_ds_load_b64 v[vgprValuA_X1_I1+0:vgprValuA_X1_I1+0+1], v[vgprLocalReadAddrA] offset:17600 // L -> Reg lro=608 swapByteOffset=16384 ti=8 vIdx=0 rIdx=0 oIdx=0 buffer=1 iui=1

/* local read b */
_ds_load_b64 v[vgprValuB_X1_I1+0:vgprValuB_X1_I1+0+1], v[vgprLocalReadAddrB] offset:18816 // L -> Reg lro=1216 swapByteOffset=16384 ti=16 vIdx=0 rIdx=0 oIdx=0 buffer=1 iui=1

/* local read increment a */
/* N/A, lro->640 */
/* self.localReadDoCntA 0 self.localReadDoCntB 0 */

/* local read increment b */
/* N/A, lro->1280 */
/* self.localReadDoCntA 0 self.localReadDoCntB 0 */
s_waitcnt lgkmcnt(4)                               // lgkmcnt=0 vmcnt=-1wait for prior local read local write old=0, new=4 newLW=0 newLR=0
.align32 8, 0xbf800001                             // align v_pk_fma
MAC_4x4_X0

/* iter 9 */


/* local read a */
_ds_load_b64 v[vgprValuA_X0_I0+0:vgprValuA_X0_I0+0+1], v[vgprLocalReadAddrA] offset:17664 // L -> Reg lro=640 swapByteOffset=16384 ti=8 vIdx=0 rIdx=0 oIdx=0 buffer=0 iui=0

/* local read b */
_ds_load_b64 v[vgprValuB_X0_I0+0:vgprValuB_X0_I0+0+1], v[vgprLocalReadAddrB] offset:18944 // L -> Reg lro=1280 swapByteOffset=16384 ti=16 vIdx=0 rIdx=0 oIdx=0 buffer=0 iui=0
_buffer_load_b64 v[vgprG2LB+10:vgprG2LB+10+1], v[vgprGlobalReadOffsetB+5], s[sgprSrdB:sgprSrdB+3], 0, offen offset:0 // G -> Reg 0_0_5_0

/* local read increment a */
/* N/A, lro->672 */
/* self.localReadDoCntA 0 self.localReadDoCntB 0 */

/* local read increment b */
/* N/A, lro->1344 */
/* self.localReadDoCntA 0 self.localReadDoCntB 0 */

/* local read a */
_ds_load_b64 v[vgprValuA_X0_I1+0:vgprValuA_X0_I1+0+1], v[vgprLocalReadAddrA] offset:17728 // L -> Reg lro=672 swapByteOffset=16384 ti=8 vIdx=0 rIdx=0 oIdx=0 buffer=0 iui=1

/* local read b */
_ds_load_b64 v[vgprValuB_X0_I1+0:vgprValuB_X0_I1+0+1], v[vgprLocalReadAddrB] offset:19072 // L -> Reg lro=1344 swapByteOffset=16384 ti=16 vIdx=0 rIdx=0 oIdx=0 buffer=0 iui=1

/* local read increment a */
/* N/A, lro->704 */
/* self.localReadDoCntA 0 self.localReadDoCntB 0 */

/* local read increment b */
/* N/A, lro->1408 */
/* self.localReadDoCntA 0 self.localReadDoCntB 0 */
s_waitcnt lgkmcnt(4)                               // lgkmcnt=0 vmcnt=-1wait for prior local read local write old=0, new=4 newLW=0 newLR=0
.align32 8, 0xbf800001                             // align v_pk_fma
MAC_4x4_X1

/* iter 10 */


/* local read a */
_ds_load_b64 v[vgprValuA_X1_I0+0:vgprValuA_X1_I0+0+1], v[vgprLocalReadAddrA] offset:17792 // L -> Reg lro=704 swapByteOffset=16384 ti=8 vIdx=0 rIdx=0 oIdx=0 buffer=1 iui=0

/* local read b */
_ds_load_b64 v[vgprValuB_X1_I0+0:vgprValuB_X1_I0+0+1], v[vgprLocalReadAddrB] offset:19200 // L -> Reg lro=1408 swapByteOffset=16384 ti=16 vIdx=0 rIdx=0 oIdx=0 buffer=1 iui=0
_buffer_load_b64 v[vgprG2LB+12:vgprG2LB+12+1], v[vgprGlobalReadOffsetB+6], s[sgprSrdB:sgprSrdB+3], 0, offen offset:0 // G -> Reg 0_0_6_0

/* local read increment a */
/* N/A, lro->736 */
/* self.localReadDoCntA 0 self.localReadDoCntB 0 */

/* local read increment b */
/* N/A, lro->1472 */
/* self.localReadDoCntA 0 self.localReadDoCntB 0 */

/* local read a */
_ds_load_b64 v[vgprValuA_X1_I1+0:vgprValuA_X1_I1+0+1], v[vgprLocalReadAddrA] offset:17856 // L -> Reg lro=736 swapByteOffset=16384 ti=8 vIdx=0 rIdx=0 oIdx=0 buffer=1 iui=1

/* local read b */
_ds_load_b64 v[vgprValuB_X1_I1+0:vgprValuB_X1_I1+0+1], v[vgprLocalReadAddrB] offset:19328 // L -> Reg lro=1472 swapByteOffset=16384 ti=16 vIdx=0 rIdx=0 oIdx=0 buffer=1 iui=1

/* local read increment a */
/* N/A, lro->768 */
/* self.localReadDoCntA 0 self.localReadDoCntB 0 */

/* local read increment b */
/* N/A, lro->1536 */
/* self.localReadDoCntA 0 self.localReadDoCntB 0 */
s_waitcnt lgkmcnt(4)                               // lgkmcnt=0 vmcnt=-1wait for prior local read local write old=0, new=4 newLW=0 newLR=0
.align32 8, 0xbf800001                             // align v_pk_fma
MAC_4x4_X0

/* iter 11 */


/* local read a */
_ds_load_b64 v[vgprValuA_X0_I0+0:vgprValuA_X0_I0+0+1], v[vgprLocalReadAddrA] offset:17920 // L -> Reg lro=768 swapByteOffset=16384 ti=8 vIdx=0 rIdx=0 oIdx=0 buffer=0 iui=0

/* local read b */
_ds_load_b64 v[vgprValuB_X0_I0+0:vgprValuB_X0_I0+0+1], v[vgprLocalReadAddrB] offset:19456 // L -> Reg lro=1536 swapByteOffset=16384 ti=16 vIdx=0 rIdx=0 oIdx=0 buffer=0 iui=0
_buffer_load_b64 v[vgprG2LB+14:vgprG2LB+14+1], v[vgprGlobalReadOffsetB+7], s[sgprSrdB:sgprSrdB+3], 0, offen offset:0 // G -> Reg 0_0_7_0

/* local read increment a */
/* N/A, lro->800 */
/* self.localReadDoCntA 0 self.localReadDoCntB 0 */

/* local read increment b */
/* N/A, lro->1600 */
/* self.localReadDoCntA 0 self.localReadDoCntB 0 */

/* local read a */
_ds_load_b64 v[vgprValuA_X0_I1+0:vgprValuA_X0_I1+0+1], v[vgprLocalReadAddrA] offset:17984 // L -> Reg lro=800 swapByteOffset=16384 ti=8 vIdx=0 rIdx=0 oIdx=0 buffer=0 iui=1

/* local read b */
_ds_load_b64 v[vgprValuB_X0_I1+0:vgprValuB_X0_I1+0+1], v[vgprLocalReadAddrB] offset:19584 // L -> Reg lro=1600 swapByteOffset=16384 ti=16 vIdx=0 rIdx=0 oIdx=0 buffer=0 iui=1

/* local read increment a */
/* N/A, lro->832 */
/* self.localReadDoCntA 0 self.localReadDoCntB 0 */

/* local read increment b */
/* N/A, lro->1664 */
/* self.localReadDoCntA 0 self.localReadDoCntB 0 */
s_waitcnt lgkmcnt(4)                               // lgkmcnt=0 vmcnt=-1wait for prior local read local write old=0, new=4 newLW=0 newLR=0
.align32 8, 0xbf800001                             // align v_pk_fma
MAC_4x4_X1

/* iter 12 */


/* local read a */
_ds_load_b64 v[vgprValuA_X1_I0+0:vgprValuA_X1_I0+0+1], v[vgprLocalReadAddrA] offset:18048 // L -> Reg lro=832 swapByteOffset=16384 ti=8 vIdx=0 rIdx=0 oIdx=0 buffer=1 iui=0

/* local read b */
_ds_load_b64 v[vgprValuB_X1_I0+0:vgprValuB_X1_I0+0+1], v[vgprLocalReadAddrB] offset:19712 // L -> Reg lro=1664 swapByteOffset=16384 ti=16 vIdx=0 rIdx=0 oIdx=0 buffer=1 iui=0

/* global read inc A loopL */
s_cmp_eq_u32 s[sgprLoopCounterL], s[sgprStaggerUIter] // Is this the wrapIter?
s_cselect_b32 s38, s[sgprWrapUA+0], s[sgprGlobalReadIncsA+0] // incLower <- ?
s_cselect_b32 s39, s[sgprWrapUA+1], 0              // incUpper <- ?
s_add_u32 s[sgprSrdA+0], s[sgprSrdA+0], s38        // gra SRD += inc(lower)
s_addc_u32  s[sgprSrdA+1], s[sgprSrdA+1], s39      // gra SRD += inc(upper)
s_sub_u32 s[sgprShadowLimitA+0], s[sgprShadowLimitA+0], s38 // limit -= inc)
s_subb_u32 s[sgprShadowLimitA+1], s[sgprShadowLimitA+1], s39 // limit -= inc)
s_cmp_eq_u32 s[sgprShadowLimitA+1], 0              // are we within 2^32?
s_cselect_b32 s[sgprSrdA+2], s[sgprShadowLimitA+0], BufferLimitA // Move shadow to real if we are within 2^32

/* local read increment a */
/* N/A, lro->864 */
/* self.localReadDoCntA 0 self.localReadDoCntB 0 */

/* local read increment b */
/* N/A, lro->1728 */
/* self.localReadDoCntA 0 self.localReadDoCntB 0 */

/* local read a */
_ds_load_b64 v[vgprValuA_X1_I1+0:vgprValuA_X1_I1+0+1], v[vgprLocalReadAddrA] offset:18112 // L -> Reg lro=864 swapByteOffset=16384 ti=8 vIdx=0 rIdx=0 oIdx=0 buffer=1 iui=1

/* local read b */
_ds_load_b64 v[vgprValuB_X1_I1+0:vgprValuB_X1_I1+0+1], v[vgprLocalReadAddrB] offset:19840 // L -> Reg lro=1728 swapByteOffset=16384 ti=16 vIdx=0 rIdx=0 oIdx=0 buffer=1 iui=1

/* local read increment a */
/* N/A, lro->896 */
/* self.localReadDoCntA 0 self.localReadDoCntB 0 */

/* local read increment b */
/* N/A, lro->1792 */
/* self.localReadDoCntA 0 self.localReadDoCntB 0 */
s_waitcnt lgkmcnt(4)                               // lgkmcnt=0 vmcnt=-1wait for prior local read local write old=0, new=4 newLW=0 newLR=0
.align32 8, 0xbf800001                             // align v_pk_fma
MAC_4x4_X0

/* iter 13 */


/* local read a */
_ds_load_b64 v[vgprValuA_X0_I0+0:vgprValuA_X0_I0+0+1], v[vgprLocalReadAddrA] offset:18176 // L -> Reg lro=896 swapByteOffset=16384 ti=8 vIdx=0 rIdx=0 oIdx=0 buffer=0 iui=0

/* local read b */
_ds_load_b64 v[vgprValuB_X0_I0+0:vgprValuB_X0_I0+0+1], v[vgprLocalReadAddrB] offset:19968 // L -> Reg lro=1792 swapByteOffset=16384 ti=16 vIdx=0 rIdx=0 oIdx=0 buffer=0 iui=0

/* global read inc B loopL */
s_cmp_eq_u32 s[sgprLoopCounterL], s[sgprStaggerUIter] // Is this the wrapIter?
s_cselect_b32 s38, s[sgprWrapUB+0], s[sgprGlobalReadIncsB+0] // incLower <- ?
s_cselect_b32 s39, s[sgprWrapUB+1], 0              // incUpper <- ?
s_add_u32 s[sgprSrdB+0], s[sgprSrdB+0], s38        // gra SRD += inc(lower)
s_addc_u32  s[sgprSrdB+1], s[sgprSrdB+1], s39      // gra SRD += inc(upper)
s_sub_u32 s[sgprShadowLimitB+0], s[sgprShadowLimitB+0], s38 // limit -= inc)
s_subb_u32 s[sgprShadowLimitB+1], s[sgprShadowLimitB+1], s39 // limit -= inc)
s_cmp_eq_u32 s[sgprShadowLimitB+1], 0              // are we within 2^32?
s_cselect_b32 s[sgprSrdB+2], s[sgprShadowLimitB+0], BufferLimitB // Move shadow to real if we are within 2^32

/* local read increment a */
/* N/A, lro->928 */
/* self.localReadDoCntA 0 self.localReadDoCntB 0 */

/* local read increment b */
/* N/A, lro->1856 */
/* self.localReadDoCntA 0 self.localReadDoCntB 0 */

/* local read a */
_ds_load_b64 v[vgprValuA_X0_I1+0:vgprValuA_X0_I1+0+1], v[vgprLocalReadAddrA] offset:18240 // L -> Reg lro=928 swapByteOffset=16384 ti=8 vIdx=0 rIdx=0 oIdx=0 buffer=0 iui=1

/* local read b */
_ds_load_b64 v[vgprValuB_X0_I1+0:vgprValuB_X0_I1+0+1], v[vgprLocalReadAddrB] offset:20096 // L -> Reg lro=1856 swapByteOffset=16384 ti=16 vIdx=0 rIdx=0 oIdx=0 buffer=0 iui=1

/* local read increment a */
/* N/A, lro->960 */
/* self.localReadDoCntA 0 self.localReadDoCntB 0 */

/* local read increment b */
/* N/A, lro->1920 */
/* self.localReadDoCntA 0 self.localReadDoCntB 0 */
s_waitcnt lgkmcnt(4)                               // lgkmcnt=0 vmcnt=-1wait for prior local read local write old=0, new=4 newLW=0 newLR=0
.align32 8, 0xbf800001                             // align v_pk_fma
MAC_4x4_X1

/* iter 14 */


/* local read a */
_ds_load_b64 v[vgprValuA_X1_I0+0:vgprValuA_X1_I0+0+1], v[vgprLocalReadAddrA] offset:18304 // L -> Reg lro=960 swapByteOffset=16384 ti=8 vIdx=0 rIdx=0 oIdx=0 buffer=1 iui=0

/* local read b */
_ds_load_b64 v[vgprValuB_X1_I0+0:vgprValuB_X1_I0+0+1], v[vgprLocalReadAddrB] offset:20224 // L -> Reg lro=1920 swapByteOffset=16384 ti=16 vIdx=0 rIdx=0 oIdx=0 buffer=1 iui=0

/* local read increment a */
/* N/A, lro->992 */
/* self.localReadDoCntA 0 self.localReadDoCntB 0 */

/* local read increment b */
/* N/A, lro->1984 */
/* self.localReadDoCntA 0 self.localReadDoCntB 0 */

/* local read a */
_ds_load_b64 v[vgprValuA_X1_I1+0:vgprValuA_X1_I1+0+1], v[vgprLocalReadAddrA] offset:18368 // L -> Reg lro=992 swapByteOffset=16384 ti=8 vIdx=0 rIdx=0 oIdx=0 buffer=1 iui=1

/* local read b */
_ds_load_b64 v[vgprValuB_X1_I1+0:vgprValuB_X1_I1+0+1], v[vgprLocalReadAddrB] offset:20352 // L -> Reg lro=1984 swapByteOffset=16384 ti=16 vIdx=0 rIdx=0 oIdx=0 buffer=1 iui=1

/* local read increment a */
/* N/A, lro->1024 */
/* self.localReadDoCntA 0 self.localReadDoCntB 0 */

/* local read increment b */
/* N/A, lro->2048 */
/* self.localReadDoCntA 0 self.localReadDoCntB 0 */
s_waitcnt lgkmcnt(4)                               // lgkmcnt=0 vmcnt=-1wait for prior local read local write old=0, new=4 newLW=0 newLR=0
.align32 8, 0xbf800001                             // align v_pk_fma
MAC_4x4_X0

/* iter 15 */


/* local read a */
_ds_load_b64 v[vgprValuA_X0_I0+0:vgprValuA_X0_I0+0+1], v[vgprLocalReadAddrA] offset:18432 // L -> Reg lro=1024 swapByteOffset=16384 ti=8 vIdx=0 rIdx=0 oIdx=0 buffer=0 iui=0

/* local read b */
_ds_load_b64 v[vgprValuB_X0_I0+0:vgprValuB_X0_I0+0+1], v[vgprLocalReadAddrB] offset:20480 // L -> Reg lro=2048 swapByteOffset=16384 ti=16 vIdx=0 rIdx=0 oIdx=0 buffer=0 iui=0

/* local read increment a */
/* N/A, lro->1056 */
/* self.localReadDoCntA 0 self.localReadDoCntB 0 */

/* local read increment b */
/* N/A, lro->2112 */
/* self.localReadDoCntA 0 self.localReadDoCntB 0 */

/* local read a */
_ds_load_b64 v[vgprValuA_X0_I1+0:vgprValuA_X0_I1+0+1], v[vgprLocalReadAddrA] offset:18496 // L -> Reg lro=1056 swapByteOffset=16384 ti=8 vIdx=0 rIdx=0 oIdx=0 buffer=0 iui=1

/* local read b */
_ds_load_b64 v[vgprValuB_X0_I1+0:vgprValuB_X0_I1+0+1], v[vgprLocalReadAddrB] offset:20608 // L -> Reg lro=2112 swapByteOffset=16384 ti=16 vIdx=0 rIdx=0 oIdx=0 buffer=0 iui=1

/* local read increment a */
/* N/A, lro->1088 */
/* self.localReadDoCntA 0 self.localReadDoCntB 0 */

/* local read increment b */
/* N/A, lro->2176 */
/* self.localReadDoCntA 0 self.localReadDoCntB 0 */
s_waitcnt lgkmcnt(4)                               // lgkmcnt=0 vmcnt=-1wait for prior local read local write old=0, new=4 newLW=0 newLR=0
.align32 8, 0xbf800001                             // align v_pk_fma
MAC_4x4_X1

/* iter 16 */


/* local read a */
_ds_load_b64 v[vgprValuA_X1_I0+0:vgprValuA_X1_I0+0+1], v[vgprLocalReadAddrA] offset:18560 // L -> Reg lro=1088 swapByteOffset=16384 ti=8 vIdx=0 rIdx=0 oIdx=0 buffer=1 iui=0

/* local read b */
_ds_load_b64 v[vgprValuB_X1_I0+0:vgprValuB_X1_I0+0+1], v[vgprLocalReadAddrB] offset:20736 // L -> Reg lro=2176 swapByteOffset=16384 ti=16 vIdx=0 rIdx=0 oIdx=0 buffer=1 iui=0

/* local read increment a */
/* N/A, lro->1120 */
/* self.localReadDoCntA 0 self.localReadDoCntB 0 */

/* local read increment b */
/* N/A, lro->2240 */
/* self.localReadDoCntA 0 self.localReadDoCntB 0 */

/* local read a */
_ds_load_b64 v[vgprValuA_X1_I1+0:vgprValuA_X1_I1+0+1], v[vgprLocalReadAddrA] offset:18624 // L -> Reg lro=1120 swapByteOffset=16384 ti=8 vIdx=0 rIdx=0 oIdx=0 buffer=1 iui=1

/* local read b */
_ds_load_b64 v[vgprValuB_X1_I1+0:vgprValuB_X1_I1+0+1], v[vgprLocalReadAddrB] offset:20864 // L -> Reg lro=2240 swapByteOffset=16384 ti=16 vIdx=0 rIdx=0 oIdx=0 buffer=1 iui=1

/* local read increment a */
/* N/A, lro->1152 */
/* self.localReadDoCntA 0 self.localReadDoCntB 0 */

/* local read increment b */
/* N/A, lro->2304 */
/* self.localReadDoCntA 0 self.localReadDoCntB 0 */
s_waitcnt lgkmcnt(4)                               // lgkmcnt=0 vmcnt=-1wait for prior local read local write old=0, new=4 newLW=0 newLR=0
.align32 8, 0xbf800001                             // align v_pk_fma
MAC_4x4_X0

/* iter 17 */


/* local read a */
_ds_load_b64 v[vgprValuA_X0_I0+0:vgprValuA_X0_I0+0+1], v[vgprLocalReadAddrA] offset:18688 // L -> Reg lro=1152 swapByteOffset=16384 ti=8 vIdx=0 rIdx=0 oIdx=0 buffer=0 iui=0

/* local read b */
_ds_load_b64 v[vgprValuB_X0_I0+0:vgprValuB_X0_I0+0+1], v[vgprLocalReadAddrB] offset:20992 // L -> Reg lro=2304 swapByteOffset=16384 ti=16 vIdx=0 rIdx=0 oIdx=0 buffer=0 iui=0

/* local read increment a */
/* N/A, lro->1184 */
/* self.localReadDoCntA 0 self.localReadDoCntB 0 */

/* local read increment b */
/* N/A, lro->2368 */
/* self.localReadDoCntA 0 self.localReadDoCntB 0 */

/* local read a */
_ds_load_b64 v[vgprValuA_X0_I1+0:vgprValuA_X0_I1+0+1], v[vgprLocalReadAddrA] offset:18752 // L -> Reg lro=1184 swapByteOffset=16384 ti=8 vIdx=0 rIdx=0 oIdx=0 buffer=0 iui=1

/* local read b */
_ds_load_b64 v[vgprValuB_X0_I1+0:vgprValuB_X0_I1+0+1], v[vgprLocalReadAddrB] offset:21120 // L -> Reg lro=2368 swapByteOffset=16384 ti=16 vIdx=0 rIdx=0 oIdx=0 buffer=0 iui=1

/* local read increment a */
/* N/A, lro->1216 */
/* self.localReadDoCntA 0 self.localReadDoCntB 0 */

/* local read increment b */
/* N/A, lro->2432 */
/* self.localReadDoCntA 0 self.localReadDoCntB 0 */
s_waitcnt lgkmcnt(4)                               // lgkmcnt=0 vmcnt=-1wait for prior local read local write old=0, new=4 newLW=0 newLR=0
.align32 8, 0xbf800001                             // align v_pk_fma
MAC_4x4_X1

/* iter 18 */


/* local read a */
_ds_load_b64 v[vgprValuA_X1_I0+0:vgprValuA_X1_I0+0+1], v[vgprLocalReadAddrA] offset:18816 // L -> Reg lro=1216 swapByteOffset=16384 ti=8 vIdx=0 rIdx=0 oIdx=0 buffer=1 iui=0

/* local read b */
_ds_load_b64 v[vgprValuB_X1_I0+0:vgprValuB_X1_I0+0+1], v[vgprLocalReadAddrB] offset:21248 // L -> Reg lro=2432 swapByteOffset=16384 ti=16 vIdx=0 rIdx=0 oIdx=0 buffer=1 iui=0

/* local read increment a */
/* N/A, lro->1248 */
/* self.localReadDoCntA 0 self.localReadDoCntB 0 */

/* local read increment b */
/* N/A, lro->2496 */
/* self.localReadDoCntA 0 self.localReadDoCntB 0 */

/* local read a */
_ds_load_b64 v[vgprValuA_X1_I1+0:vgprValuA_X1_I1+0+1], v[vgprLocalReadAddrA] offset:18880 // L -> Reg lro=1248 swapByteOffset=16384 ti=8 vIdx=0 rIdx=0 oIdx=0 buffer=1 iui=1

/* local read b */
_ds_load_b64 v[vgprValuB_X1_I1+0:vgprValuB_X1_I1+0+1], v[vgprLocalReadAddrB] offset:21376 // L -> Reg lro=2496 swapByteOffset=16384 ti=16 vIdx=0 rIdx=0 oIdx=0 buffer=1 iui=1

/* local read increment a */
/* N/A, lro->1280 */
/* self.localReadDoCntA 0 self.localReadDoCntB 0 */

/* local read increment b */
/* N/A, lro->2560 */
/* self.localReadDoCntA 0 self.localReadDoCntB 0 */
s_waitcnt lgkmcnt(4)                               // lgkmcnt=0 vmcnt=-1wait for prior local read local write old=0, new=4 newLW=0 newLR=0
.align32 8, 0xbf800001                             // align v_pk_fma
MAC_4x4_X0

/* iter 19 */


/* local read a */
_ds_load_b64 v[vgprValuA_X0_I0+0:vgprValuA_X0_I0+0+1], v[vgprLocalReadAddrA] offset:18944 // L -> Reg lro=1280 swapByteOffset=16384 ti=8 vIdx=0 rIdx=0 oIdx=0 buffer=0 iui=0

/* local read b */
_ds_load_b64 v[vgprValuB_X0_I0+0:vgprValuB_X0_I0+0+1], v[vgprLocalReadAddrB] offset:21504 // L -> Reg lro=2560 swapByteOffset=16384 ti=16 vIdx=0 rIdx=0 oIdx=0 buffer=0 iui=0

/* local read increment a */
/* N/A, lro->1312 */
/* self.localReadDoCntA 0 self.localReadDoCntB 0 */

/* local read increment b */
/* N/A, lro->2624 */
/* self.localReadDoCntA 0 self.localReadDoCntB 0 */

/* local read a */
_ds_load_b64 v[vgprValuA_X0_I1+0:vgprValuA_X0_I1+0+1], v[vgprLocalReadAddrA] offset:19008 // L -> Reg lro=1312 swapByteOffset=16384 ti=8 vIdx=0 rIdx=0 oIdx=0 buffer=0 iui=1

/* local read b */
_ds_load_b64 v[vgprValuB_X0_I1+0:vgprValuB_X0_I1+0+1], v[vgprLocalReadAddrB] offset:21632 // L -> Reg lro=2624 swapByteOffset=16384 ti=16 vIdx=0 rIdx=0 oIdx=0 buffer=0 iui=1

/* local read increment a */
/* N/A, lro->1344 */
/* self.localReadDoCntA 0 self.localReadDoCntB 0 */

/* local read increment b */
/* N/A, lro->2688 */
/* self.localReadDoCntA 0 self.localReadDoCntB 0 */
/* sched write - iter 19 writesPerItem=4 */
s_waitcnt vmcnt(0)                                 // lgkmcnt=-1 vmcnt=0wait for global read before writing to local
_ds_store_b16 v[vgprLocalWriteAddrA], v[vgprG2LA+0:vgprG2LA+0+0] offset:0 // lwoA_0_0_0_0 = (0 + 0*LSCA)*(MT0I+PAD) + (0*LSPA) = 0
_ds_store_b16_d16_hi v[vgprLocalWriteAddrA], v[vgprG2LA+0:vgprG2LA+0+0] offset:2 // lwoA_0_1_0_0 = (1 + 0*LSCA)*(MT0I+PAD) + (0*LSPA) = 2
_ds_store_b16 v[vgprLocalWriteAddrA], v[vgprG2LA+1:vgprG2LA+1+0] offset:128 // lwoA_0_2_0_0 = (2 + 0*LSCA)*(MT0I+PAD) + (0*LSPA) = 128
_ds_store_b16_d16_hi v[vgprLocalWriteAddrA], v[vgprG2LA+1:vgprG2LA+1+0] offset:130 // lwoA_0_3_0_0 = (3 + 0*LSCA)*(MT0I+PAD) + (0*LSPA) = 130
s_waitcnt lgkmcnt(8)                               // lgkmcnt=0 vmcnt=-1wait for prior local read local write old=0, new=8 newLW=0 newLR=0
.align32 8, 0xbf800001                             // align v_pk_fma
MAC_4x4_X1

/* iter 20 */


/* local read a */
_ds_load_b64 v[vgprValuA_X1_I0+0:vgprValuA_X1_I0+0+1], v[vgprLocalReadAddrA] offset:19072 // L -> Reg lro=1344 swapByteOffset=16384 ti=8 vIdx=0 rIdx=0 oIdx=0 buffer=1 iui=0

/* local read b */
_ds_load_b64 v[vgprValuB_X1_I0+0:vgprValuB_X1_I0+0+1], v[vgprLocalReadAddrB] offset:21760 // L -> Reg lro=2688 swapByteOffset=16384 ti=16 vIdx=0 rIdx=0 oIdx=0 buffer=1 iui=0

/* local read increment a */
/* N/A, lro->1376 */
/* self.localReadDoCntA 0 self.localReadDoCntB 0 */

/* local read increment b */
/* N/A, lro->2752 */
/* self.localReadDoCntA 0 self.localReadDoCntB 0 */

/* local read a */
_ds_load_b64 v[vgprValuA_X1_I1+0:vgprValuA_X1_I1+0+1], v[vgprLocalReadAddrA] offset:19136 // L -> Reg lro=1376 swapByteOffset=16384 ti=8 vIdx=0 rIdx=0 oIdx=0 buffer=1 iui=1

/* local read b */
_ds_load_b64 v[vgprValuB_X1_I1+0:vgprValuB_X1_I1+0+1], v[vgprLocalReadAddrB] offset:21888 // L -> Reg lro=2752 swapByteOffset=16384 ti=16 vIdx=0 rIdx=0 oIdx=0 buffer=1 iui=1

/* local read increment a */
/* N/A, lro->1408 */
/* self.localReadDoCntA 0 self.localReadDoCntB 0 */

/* local read increment b */
/* N/A, lro->2816 */
/* self.localReadDoCntA 0 self.localReadDoCntB 0 */
/* sched write - iter 20 writesPerItem=4 */
s_waitcnt vmcnt(0)                                 // lgkmcnt=-1 vmcnt=0wait for global read before writing to local
_ds_store_b16 v[vgprLocalWriteAddrA], v[vgprG2LA+2:vgprG2LA+2+0] offset:16 // lwoA_0_0_1_0 = (0 + 0*LSCA)*(MT0I+PAD) + (1*LSPA) = 16
_ds_store_b16_d16_hi v[vgprLocalWriteAddrA], v[vgprG2LA+2:vgprG2LA+2+0] offset:18 // lwoA_0_1_1_0 = (1 + 0*LSCA)*(MT0I+PAD) + (1*LSPA) = 18
_ds_store_b16 v[vgprLocalWriteAddrA], v[vgprG2LA+3:vgprG2LA+3+0] offset:144 // lwoA_0_2_1_0 = (2 + 0*LSCA)*(MT0I+PAD) + (1*LSPA) = 144
_ds_store_b16_d16_hi v[vgprLocalWriteAddrA], v[vgprG2LA+3:vgprG2LA+3+0] offset:146 // lwoA_0_3_1_0 = (3 + 0*LSCA)*(MT0I+PAD) + (1*LSPA) = 146
s_waitcnt lgkmcnt(8)                               // lgkmcnt=0 vmcnt=-1wait for prior local read local write old=0, new=8 newLW=0 newLR=0
.align32 8, 0xbf800001                             // align v_pk_fma
MAC_4x4_X0

/* iter 21 */


/* local read a */
_ds_load_b64 v[vgprValuA_X0_I0+0:vgprValuA_X0_I0+0+1], v[vgprLocalReadAddrA] offset:19200 // L -> Reg lro=1408 swapByteOffset=16384 ti=8 vIdx=0 rIdx=0 oIdx=0 buffer=0 iui=0

/* local read b */
_ds_load_b64 v[vgprValuB_X0_I0+0:vgprValuB_X0_I0+0+1], v[vgprLocalReadAddrB] offset:22016 // L -> Reg lro=2816 swapByteOffset=16384 ti=16 vIdx=0 rIdx=0 oIdx=0 buffer=0 iui=0

/* local read increment a */
/* N/A, lro->1440 */
/* self.localReadDoCntA 0 self.localReadDoCntB 0 */

/* local read increment b */
/* N/A, lro->2880 */
/* self.localReadDoCntA 0 self.localReadDoCntB 0 */

/* local read a */
_ds_load_b64 v[vgprValuA_X0_I1+0:vgprValuA_X0_I1+0+1], v[vgprLocalReadAddrA] offset:19264 // L -> Reg lro=1440 swapByteOffset=16384 ti=8 vIdx=0 rIdx=0 oIdx=0 buffer=0 iui=1

/* local read b */
_ds_load_b64 v[vgprValuB_X0_I1+0:vgprValuB_X0_I1+0+1], v[vgprLocalReadAddrB] offset:22144 // L -> Reg lro=2880 swapByteOffset=16384 ti=16 vIdx=0 rIdx=0 oIdx=0 buffer=0 iui=1

/* local read increment a */
/* N/A, lro->1472 */
/* self.localReadDoCntA 0 self.localReadDoCntB 0 */

/* local read increment b */
/* N/A, lro->2944 */
/* self.localReadDoCntA 0 self.localReadDoCntB 0 */
/* sched write - iter 21 writesPerItem=4 */
s_waitcnt vmcnt(0)                                 // lgkmcnt=-1 vmcnt=0wait for global read before writing to local
_ds_store_b16 v[vgprLocalWriteAddrA], v[vgprG2LA+4:vgprG2LA+4+0] offset:32 // lwoA_0_0_2_0 = (0 + 0*LSCA)*(MT0I+PAD) + (2*LSPA) = 32
_ds_store_b16_d16_hi v[vgprLocalWriteAddrA], v[vgprG2LA+4:vgprG2LA+4+0] offset:34 // lwoA_0_1_2_0 = (1 + 0*LSCA)*(MT0I+PAD) + (2*LSPA) = 34
_ds_store_b16 v[vgprLocalWriteAddrA], v[vgprG2LA+5:vgprG2LA+5+0] offset:160 // lwoA_0_2_2_0 = (2 + 0*LSCA)*(MT0I+PAD) + (2*LSPA) = 160
_ds_store_b16_d16_hi v[vgprLocalWriteAddrA], v[vgprG2LA+5:vgprG2LA+5+0] offset:162 // lwoA_0_3_2_0 = (3 + 0*LSCA)*(MT0I+PAD) + (2*LSPA) = 162
s_waitcnt lgkmcnt(8)                               // lgkmcnt=0 vmcnt=-1wait for prior local read local write old=0, new=8 newLW=0 newLR=0
.align32 8, 0xbf800001                             // align v_pk_fma
MAC_4x4_X1

/* iter 22 */


/* local read a */
_ds_load_b64 v[vgprValuA_X1_I0+0:vgprValuA_X1_I0+0+1], v[vgprLocalReadAddrA] offset:19328 // L -> Reg lro=1472 swapByteOffset=16384 ti=8 vIdx=0 rIdx=0 oIdx=0 buffer=1 iui=0

/* local read b */
_ds_load_b64 v[vgprValuB_X1_I0+0:vgprValuB_X1_I0+0+1], v[vgprLocalReadAddrB] offset:22272 // L -> Reg lro=2944 swapByteOffset=16384 ti=16 vIdx=0 rIdx=0 oIdx=0 buffer=1 iui=0

/* local read increment a */
/* N/A, lro->1504 */
/* self.localReadDoCntA 0 self.localReadDoCntB 0 */

/* local read increment b */
/* N/A, lro->3008 */
/* self.localReadDoCntA 0 self.localReadDoCntB 0 */

/* local read a */
_ds_load_b64 v[vgprValuA_X1_I1+0:vgprValuA_X1_I1+0+1], v[vgprLocalReadAddrA] offset:19392 // L -> Reg lro=1504 swapByteOffset=16384 ti=8 vIdx=0 rIdx=0 oIdx=0 buffer=1 iui=1

/* local read b */
_ds_load_b64 v[vgprValuB_X1_I1+0:vgprValuB_X1_I1+0+1], v[vgprLocalReadAddrB] offset:22400 // L -> Reg lro=3008 swapByteOffset=16384 ti=16 vIdx=0 rIdx=0 oIdx=0 buffer=1 iui=1

/* local read increment a */
/* N/A, lro->1536 */
/* self.localReadDoCntA 0 self.localReadDoCntB 0 */

/* local read increment b */
/* N/A, lro->3072 */
/* self.localReadDoCntA 0 self.localReadDoCntB 0 */
/* sched write - iter 22 writesPerItem=4 */
s_waitcnt vmcnt(0)                                 // lgkmcnt=-1 vmcnt=0wait for global read before writing to local
_ds_store_b16 v[vgprLocalWriteAddrA], v[vgprG2LA+6:vgprG2LA+6+0] offset:48 // lwoA_0_0_3_0 = (0 + 0*LSCA)*(MT0I+PAD) + (3*LSPA) = 48
_ds_store_b16_d16_hi v[vgprLocalWriteAddrA], v[vgprG2LA+6:vgprG2LA+6+0] offset:50 // lwoA_0_1_3_0 = (1 + 0*LSCA)*(MT0I+PAD) + (3*LSPA) = 50
_ds_store_b16 v[vgprLocalWriteAddrA], v[vgprG2LA+7:vgprG2LA+7+0] offset:176 // lwoA_0_2_3_0 = (2 + 0*LSCA)*(MT0I+PAD) + (3*LSPA) = 176
_ds_store_b16_d16_hi v[vgprLocalWriteAddrA], v[vgprG2LA+7:vgprG2LA+7+0] offset:178 // lwoA_0_3_3_0 = (3 + 0*LSCA)*(MT0I+PAD) + (3*LSPA) = 178
s_waitcnt lgkmcnt(8)                               // lgkmcnt=0 vmcnt=-1wait for prior local read local write old=0, new=8 newLW=0 newLR=0
.align32 8, 0xbf800001                             // align v_pk_fma
MAC_4x4_X0

/* iter 23 */


/* local read a */
_ds_load_b64 v[vgprValuA_X0_I0+0:vgprValuA_X0_I0+0+1], v[vgprLocalReadAddrA] offset:19456 // L -> Reg lro=1536 swapByteOffset=16384 ti=8 vIdx=0 rIdx=0 oIdx=0 buffer=0 iui=0

/* local read b */
_ds_load_b64 v[vgprValuB_X0_I0+0:vgprValuB_X0_I0+0+1], v[vgprLocalReadAddrB] offset:22528 // L -> Reg lro=3072 swapByteOffset=16384 ti=16 vIdx=0 rIdx=0 oIdx=0 buffer=0 iui=0

/* local read increment a */
/* N/A, lro->1568 */
/* self.localReadDoCntA 0 self.localReadDoCntB 0 */

/* local read increment b */
/* N/A, lro->3136 */
/* self.localReadDoCntA 0 self.localReadDoCntB 0 */

/* local read a */
_ds_load_b64 v[vgprValuA_X0_I1+0:vgprValuA_X0_I1+0+1], v[vgprLocalReadAddrA] offset:19520 // L -> Reg lro=1568 swapByteOffset=16384 ti=8 vIdx=0 rIdx=0 oIdx=0 buffer=0 iui=1

/* local read b */
_ds_load_b64 v[vgprValuB_X0_I1+0:vgprValuB_X0_I1+0+1], v[vgprLocalReadAddrB] offset:22656 // L -> Reg lro=3136 swapByteOffset=16384 ti=16 vIdx=0 rIdx=0 oIdx=0 buffer=0 iui=1

/* local read increment a */
/* N/A, lro->1600 */
/* self.localReadDoCntA 0 self.localReadDoCntB 0 */

/* local read increment b */
/* N/A, lro->3200 */
/* self.localReadDoCntA 0 self.localReadDoCntB 0 */
/* sched write - iter 23 writesPerItem=4 */
s_waitcnt vmcnt(0)                                 // lgkmcnt=-1 vmcnt=0wait for global read before writing to local
_ds_store_b16 v[vgprLocalWriteAddrB], v[vgprG2LB+0:vgprG2LB+0+0] offset:0 // lwoB_0_0_0_0 = (0 + 0*LSCB) + (0*LSPB)(*MT1J+PAD) = 0
_ds_store_b16_d16_hi v[vgprLocalWriteAddrB], v[vgprG2LB+0:vgprG2LB+0+0] offset:128 // lwoB_0_0_0_1 = (0 + 0*LSCB) + (0*LSPB)(*MT1J+PAD) = 128
_ds_store_b16 v[vgprLocalWriteAddrB], v[vgprG2LB+1:vgprG2LB+1+0] offset:4 // lwoB_0_0_0_2 = (0 + 0*LSCB) + (0*LSPB)(*MT1J+PAD) = 4
_ds_store_b16_d16_hi v[vgprLocalWriteAddrB], v[vgprG2LB+1:vgprG2LB+1+0] offset:132 // lwoB_0_0_0_3 = (0 + 0*LSCB) + (0*LSPB)(*MT1J+PAD) = 132
s_waitcnt lgkmcnt(8)                               // lgkmcnt=0 vmcnt=-1wait for prior local read local write old=0, new=8 newLW=0 newLR=0
.align32 8, 0xbf800001                             // align v_pk_fma
MAC_4x4_X1

/* iter 24 */


/* local read a */
_ds_load_b64 v[vgprValuA_X1_I0+0:vgprValuA_X1_I0+0+1], v[vgprLocalReadAddrA] offset:19584 // L -> Reg lro=1600 swapByteOffset=16384 ti=8 vIdx=0 rIdx=0 oIdx=0 buffer=1 iui=0

/* local read b */
_ds_load_b64 v[vgprValuB_X1_I0+0:vgprValuB_X1_I0+0+1], v[vgprLocalReadAddrB] offset:22784 // L -> Reg lro=3200 swapByteOffset=16384 ti=16 vIdx=0 rIdx=0 oIdx=0 buffer=1 iui=0

/* local read increment a */
/* N/A, lro->1632 */
/* self.localReadDoCntA 0 self.localReadDoCntB 0 */

/* local read increment b */
/* N/A, lro->3264 */
/* self.localReadDoCntA 0 self.localReadDoCntB 0 */

/* local read a */
_ds_load_b64 v[vgprValuA_X1_I1+0:vgprValuA_X1_I1+0+1], v[vgprLocalReadAddrA] offset:19648 // L -> Reg lro=1632 swapByteOffset=16384 ti=8 vIdx=0 rIdx=0 oIdx=0 buffer=1 iui=1

/* local read b */
_ds_load_b64 v[vgprValuB_X1_I1+0:vgprValuB_X1_I1+0+1], v[vgprLocalReadAddrB] offset:22912 // L -> Reg lro=3264 swapByteOffset=16384 ti=16 vIdx=0 rIdx=0 oIdx=0 buffer=1 iui=1

/* local read increment a */
/* N/A, lro->1664 */
/* self.localReadDoCntA 0 self.localReadDoCntB 0 */

/* local read increment b */
/* N/A, lro->3328 */
/* self.localReadDoCntA 0 self.localReadDoCntB 0 */
/* sched write - iter 24 writesPerItem=4 */
s_waitcnt vmcnt(0)                                 // lgkmcnt=-1 vmcnt=0wait for global read before writing to local
_ds_store_b16 v[vgprLocalWriteAddrB], v[vgprG2LB+2:vgprG2LB+2+0] offset:1024 // lwoB_0_0_1_0 = (0 + 0*LSCB) + (1*LSPB)(*MT1J+PAD) = 1024
_ds_store_b16_d16_hi v[vgprLocalWriteAddrB], v[vgprG2LB+2:vgprG2LB+2+0] offset:1152 // lwoB_0_0_1_1 = (0 + 0*LSCB) + (1*LSPB)(*MT1J+PAD) = 1152
_ds_store_b16 v[vgprLocalWriteAddrB], v[vgprG2LB+3:vgprG2LB+3+0] offset:1028 // lwoB_0_0_1_2 = (0 + 0*LSCB) + (1*LSPB)(*MT1J+PAD) = 1028
_ds_store_b16_d16_hi v[vgprLocalWriteAddrB], v[vgprG2LB+3:vgprG2LB+3+0] offset:1156 // lwoB_0_0_1_3 = (0 + 0*LSCB) + (1*LSPB)(*MT1J+PAD) = 1156
s_waitcnt lgkmcnt(8)                               // lgkmcnt=0 vmcnt=-1wait for prior local read local write old=0, new=8 newLW=0 newLR=0
.align32 8, 0xbf800001                             // align v_pk_fma
MAC_4x4_X0

/* iter 25 */


/* local read a */
_ds_load_b64 v[vgprValuA_X0_I0+0:vgprValuA_X0_I0+0+1], v[vgprLocalReadAddrA] offset:19712 // L -> Reg lro=1664 swapByteOffset=16384 ti=8 vIdx=0 rIdx=0 oIdx=0 buffer=0 iui=0

/* local read b */
_ds_load_b64 v[vgprValuB_X0_I0+0:vgprValuB_X0_I0+0+1], v[vgprLocalReadAddrB] offset:23040 // L -> Reg lro=3328 swapByteOffset=16384 ti=16 vIdx=0 rIdx=0 oIdx=0 buffer=0 iui=0

/* local read increment a */
/* N/A, lro->1696 */
/* self.localReadDoCntA 0 self.localReadDoCntB 0 */

/* local read increment b */
/* N/A, lro->3392 */
/* self.localReadDoCntA 0 self.localReadDoCntB 0 */

/* local read a */
_ds_load_b64 v[vgprValuA_X0_I1+0:vgprValuA_X0_I1+0+1], v[vgprLocalReadAddrA] offset:19776 // L -> Reg lro=1696 swapByteOffset=16384 ti=8 vIdx=0 rIdx=0 oIdx=0 buffer=0 iui=1

/* local read b */
_ds_load_b64 v[vgprValuB_X0_I1+0:vgprValuB_X0_I1+0+1], v[vgprLocalReadAddrB] offset:23168 // L -> Reg lro=3392 swapByteOffset=16384 ti=16 vIdx=0 rIdx=0 oIdx=0 buffer=0 iui=1

/* local read increment a */
/* N/A, lro->1728 */
/* self.localReadDoCntA 0 self.localReadDoCntB 0 */

/* local read increment b */
/* N/A, lro->3456 */
/* self.localReadDoCntA 0 self.localReadDoCntB 0 */
/* sched write - iter 25 writesPerItem=4 */
s_waitcnt vmcnt(0)                                 // lgkmcnt=-1 vmcnt=0wait for global read before writing to local
_ds_store_b16 v[vgprLocalWriteAddrB], v[vgprG2LB+4:vgprG2LB+4+0] offset:2048 // lwoB_0_0_2_0 = (0 + 0*LSCB) + (2*LSPB)(*MT1J+PAD) = 2048
_ds_store_b16_d16_hi v[vgprLocalWriteAddrB], v[vgprG2LB+4:vgprG2LB+4+0] offset:2176 // lwoB_0_0_2_1 = (0 + 0*LSCB) + (2*LSPB)(*MT1J+PAD) = 2176
_ds_store_b16 v[vgprLocalWriteAddrB], v[vgprG2LB+5:vgprG2LB+5+0] offset:2052 // lwoB_0_0_2_2 = (0 + 0*LSCB) + (2*LSPB)(*MT1J+PAD) = 2052
_ds_store_b16_d16_hi v[vgprLocalWriteAddrB], v[vgprG2LB+5:vgprG2LB+5+0] offset:2180 // lwoB_0_0_2_3 = (0 + 0*LSCB) + (2*LSPB)(*MT1J+PAD) = 2180
s_waitcnt lgkmcnt(8)                               // lgkmcnt=0 vmcnt=-1wait for prior local read local write old=0, new=8 newLW=0 newLR=0
.align32 8, 0xbf800001                             // align v_pk_fma
MAC_4x4_X1

/* iter 26 */


/* local read a */
_ds_load_b64 v[vgprValuA_X1_I0+0:vgprValuA_X1_I0+0+1], v[vgprLocalReadAddrA] offset:19840 // L -> Reg lro=1728 swapByteOffset=16384 ti=8 vIdx=0 rIdx=0 oIdx=0 buffer=1 iui=0

/* local read b */
_ds_load_b64 v[vgprValuB_X1_I0+0:vgprValuB_X1_I0+0+1], v[vgprLocalReadAddrB] offset:23296 // L -> Reg lro=3456 swapByteOffset=16384 ti=16 vIdx=0 rIdx=0 oIdx=0 buffer=1 iui=0

/* local read increment a */
/* N/A, lro->1760 */
/* self.localReadDoCntA 0 self.localReadDoCntB 0 */

/* local read increment b */
/* N/A, lro->3520 */
/* self.localReadDoCntA 0 self.localReadDoCntB 0 */

/* local read a */
_ds_load_b64 v[vgprValuA_X1_I1+0:vgprValuA_X1_I1+0+1], v[vgprLocalReadAddrA] offset:19904 // L -> Reg lro=1760 swapByteOffset=16384 ti=8 vIdx=0 rIdx=0 oIdx=0 buffer=1 iui=1

/* local read b */
_ds_load_b64 v[vgprValuB_X1_I1+0:vgprValuB_X1_I1+0+1], v[vgprLocalReadAddrB] offset:23424 // L -> Reg lro=3520 swapByteOffset=16384 ti=16 vIdx=0 rIdx=0 oIdx=0 buffer=1 iui=1

/* local read increment a */
/* N/A, lro->1792 */
/* self.localReadDoCntA 0 self.localReadDoCntB 0 */

/* local read increment b */
/* N/A, lro->3584 */
/* self.localReadDoCntA 0 self.localReadDoCntB 0 */
/* sched write - iter 26 writesPerItem=4 */
s_waitcnt vmcnt(0)                                 // lgkmcnt=-1 vmcnt=0wait for global read before writing to local
_ds_store_b16 v[vgprLocalWriteAddrB], v[vgprG2LB+6:vgprG2LB+6+0] offset:3072 // lwoB_0_0_3_0 = (0 + 0*LSCB) + (3*LSPB)(*MT1J+PAD) = 3072
_ds_store_b16_d16_hi v[vgprLocalWriteAddrB], v[vgprG2LB+6:vgprG2LB+6+0] offset:3200 // lwoB_0_0_3_1 = (0 + 0*LSCB) + (3*LSPB)(*MT1J+PAD) = 3200
_ds_store_b16 v[vgprLocalWriteAddrB], v[vgprG2LB+7:vgprG2LB+7+0] offset:3076 // lwoB_0_0_3_2 = (0 + 0*LSCB) + (3*LSPB)(*MT1J+PAD) = 3076
_ds_store_b16_d16_hi v[vgprLocalWriteAddrB], v[vgprG2LB+7:vgprG2LB+7+0] offset:3204 // lwoB_0_0_3_3 = (0 + 0*LSCB) + (3*LSPB)(*MT1J+PAD) = 3204
s_waitcnt lgkmcnt(8)                               // lgkmcnt=0 vmcnt=-1wait for prior local read local write old=0, new=8 newLW=0 newLR=0
.align32 8, 0xbf800001                             // align v_pk_fma
MAC_4x4_X0

/* iter 27 */


/* local read a */
_ds_load_b64 v[vgprValuA_X0_I0+0:vgprValuA_X0_I0+0+1], v[vgprLocalReadAddrA] offset:19968 // L -> Reg lro=1792 swapByteOffset=16384 ti=8 vIdx=0 rIdx=0 oIdx=0 buffer=0 iui=0

/* local read b */
_ds_load_b64 v[vgprValuB_X0_I0+0:vgprValuB_X0_I0+0+1], v[vgprLocalReadAddrB] offset:23552 // L -> Reg lro=3584 swapByteOffset=16384 ti=16 vIdx=0 rIdx=0 oIdx=0 buffer=0 iui=0

/* local read increment a */
/* N/A, lro->1824 */
/* self.localReadDoCntA 0 self.localReadDoCntB 0 */

/* local read increment b */
/* N/A, lro->3648 */
/* self.localReadDoCntA 0 self.localReadDoCntB 0 */

/* local read a */
_ds_load_b64 v[vgprValuA_X0_I1+0:vgprValuA_X0_I1+0+1], v[vgprLocalReadAddrA] offset:20032 // L -> Reg lro=1824 swapByteOffset=16384 ti=8 vIdx=0 rIdx=0 oIdx=0 buffer=0 iui=1

/* local read b */
_ds_load_b64 v[vgprValuB_X0_I1+0:vgprValuB_X0_I1+0+1], v[vgprLocalReadAddrB] offset:23680 // L -> Reg lro=3648 swapByteOffset=16384 ti=16 vIdx=0 rIdx=0 oIdx=0 buffer=0 iui=1

/* local read increment a */
/* N/A, lro->1856 */
/* self.localReadDoCntA 0 self.localReadDoCntB 0 */

/* local read increment b */
/* N/A, lro->3712 */
/* self.localReadDoCntA 0 self.localReadDoCntB 0 */
/* sched write - iter 27 writesPerItem=4 */
s_waitcnt vmcnt(0)                                 // lgkmcnt=-1 vmcnt=0wait for global read before writing to local
_ds_store_b16 v[vgprLocalWriteAddrB], v[vgprG2LB+8:vgprG2LB+8+0] offset:4096 // lwoB_0_0_4_0 = (0 + 0*LSCB) + (4*LSPB)(*MT1J+PAD) = 4096
_ds_store_b16_d16_hi v[vgprLocalWriteAddrB], v[vgprG2LB+8:vgprG2LB+8+0] offset:4224 // lwoB_0_0_4_1 = (0 + 0*LSCB) + (4*LSPB)(*MT1J+PAD) = 4224
_ds_store_b16 v[vgprLocalWriteAddrB], v[vgprG2LB+9:vgprG2LB+9+0] offset:4100 // lwoB_0_0_4_2 = (0 + 0*LSCB) + (4*LSPB)(*MT1J+PAD) = 4100
_ds_store_b16_d16_hi v[vgprLocalWriteAddrB], v[vgprG2LB+9:vgprG2LB+9+0] offset:4228 // lwoB_0_0_4_3 = (0 + 0*LSCB) + (4*LSPB)(*MT1J+PAD) = 4228
s_waitcnt lgkmcnt(8)                               // lgkmcnt=0 vmcnt=-1wait for prior local read local write old=0, new=8 newLW=0 newLR=0
.align32 8, 0xbf800001                             // align v_pk_fma
MAC_4x4_X1

/* iter 28 */


/* local read a */
_ds_load_b64 v[vgprValuA_X1_I0+0:vgprValuA_X1_I0+0+1], v[vgprLocalReadAddrA] offset:20096 // L -> Reg lro=1856 swapByteOffset=16384 ti=8 vIdx=0 rIdx=0 oIdx=0 buffer=1 iui=0

/* local read b */
_ds_load_b64 v[vgprValuB_X1_I0+0:vgprValuB_X1_I0+0+1], v[vgprLocalReadAddrB] offset:23808 // L -> Reg lro=3712 swapByteOffset=16384 ti=16 vIdx=0 rIdx=0 oIdx=0 buffer=1 iui=0

/* local read increment a */
/* N/A, lro->1888 */
/* self.localReadDoCntA 0 self.localReadDoCntB 0 */

/* local read increment b */
/* N/A, lro->3776 */
/* self.localReadDoCntA 0 self.localReadDoCntB 0 */

/* local read a */
_ds_load_b64 v[vgprValuA_X1_I1+0:vgprValuA_X1_I1+0+1], v[vgprLocalReadAddrA] offset:20160 // L -> Reg lro=1888 swapByteOffset=16384 ti=8 vIdx=0 rIdx=0 oIdx=0 buffer=1 iui=1

/* local read b */
_ds_load_b64 v[vgprValuB_X1_I1+0:vgprValuB_X1_I1+0+1], v[vgprLocalReadAddrB] offset:23936 // L -> Reg lro=3776 swapByteOffset=16384 ti=16 vIdx=0 rIdx=0 oIdx=0 buffer=1 iui=1

/* local read increment a */
/* N/A, lro->1920 */
/* self.localReadDoCntA 0 self.localReadDoCntB 0 */

/* local read increment b */
/* N/A, lro->3840 */
/* self.localReadDoCntA 0 self.localReadDoCntB 0 */
/* sched write - iter 28 writesPerItem=4 */
s_waitcnt vmcnt(0)                                 // lgkmcnt=-1 vmcnt=0wait for global read before writing to local
_ds_store_b16 v[vgprLocalWriteAddrB], v[vgprG2LB+10:vgprG2LB+10+0] offset:5120 // lwoB_0_0_5_0 = (0 + 0*LSCB) + (5*LSPB)(*MT1J+PAD) = 5120
_ds_store_b16_d16_hi v[vgprLocalWriteAddrB], v[vgprG2LB+10:vgprG2LB+10+0] offset:5248 // lwoB_0_0_5_1 = (0 + 0*LSCB) + (5*LSPB)(*MT1J+PAD) = 5248
_ds_store_b16 v[vgprLocalWriteAddrB], v[vgprG2LB+11:vgprG2LB+11+0] offset:5124 // lwoB_0_0_5_2 = (0 + 0*LSCB) + (5*LSPB)(*MT1J+PAD) = 5124
_ds_store_b16_d16_hi v[vgprLocalWriteAddrB], v[vgprG2LB+11:vgprG2LB+11+0] offset:5252 // lwoB_0_0_5_3 = (0 + 0*LSCB) + (5*LSPB)(*MT1J+PAD) = 5252
s_waitcnt lgkmcnt(8)                               // lgkmcnt=0 vmcnt=-1wait for prior local read local write old=0, new=8 newLW=0 newLR=0
.align32 8, 0xbf800001                             // align v_pk_fma
MAC_4x4_X0

/* iter 29 */


/* local read a */
_ds_load_b64 v[vgprValuA_X0_I0+0:vgprValuA_X0_I0+0+1], v[vgprLocalReadAddrA] offset:20224 // L -> Reg lro=1920 swapByteOffset=16384 ti=8 vIdx=0 rIdx=0 oIdx=0 buffer=0 iui=0

/* local read b */
_ds_load_b64 v[vgprValuB_X0_I0+0:vgprValuB_X0_I0+0+1], v[vgprLocalReadAddrB] offset:24064 // L -> Reg lro=3840 swapByteOffset=16384 ti=16 vIdx=0 rIdx=0 oIdx=0 buffer=0 iui=0

/* local read increment a */
/* N/A, lro->1952 */
/* self.localReadDoCntA 0 self.localReadDoCntB 0 */

/* local read increment b */
/* N/A, lro->3904 */
/* self.localReadDoCntA 0 self.localReadDoCntB 0 */

/* local read a */
_ds_load_b64 v[vgprValuA_X0_I1+0:vgprValuA_X0_I1+0+1], v[vgprLocalReadAddrA] offset:20288 // L -> Reg lro=1952 swapByteOffset=16384 ti=8 vIdx=0 rIdx=0 oIdx=0 buffer=0 iui=1

/* local read b */
_ds_load_b64 v[vgprValuB_X0_I1+0:vgprValuB_X0_I1+0+1], v[vgprLocalReadAddrB] offset:24192 // L -> Reg lro=3904 swapByteOffset=16384 ti=16 vIdx=0 rIdx=0 oIdx=0 buffer=0 iui=1

/* local read increment a */
/* N/A, lro->1984 */
/* self.localReadDoCntA 0 self.localReadDoCntB 0 */

/* local read increment b */
/* N/A, lro->3968 */
/* self.localReadDoCntA 0 self.localReadDoCntB 0 */
/* sched write - iter 29 writesPerItem=4 */
s_waitcnt vmcnt(0)                                 // lgkmcnt=-1 vmcnt=0wait for global read before writing to local
_ds_store_b16 v[vgprLocalWriteAddrB], v[vgprG2LB+12:vgprG2LB+12+0] offset:6144 // lwoB_0_0_6_0 = (0 + 0*LSCB) + (6*LSPB)(*MT1J+PAD) = 6144
_ds_store_b16_d16_hi v[vgprLocalWriteAddrB], v[vgprG2LB+12:vgprG2LB+12+0] offset:6272 // lwoB_0_0_6_1 = (0 + 0*LSCB) + (6*LSPB)(*MT1J+PAD) = 6272
_ds_store_b16 v[vgprLocalWriteAddrB], v[vgprG2LB+13:vgprG2LB+13+0] offset:6148 // lwoB_0_0_6_2 = (0 + 0*LSCB) + (6*LSPB)(*MT1J+PAD) = 6148
_ds_store_b16_d16_hi v[vgprLocalWriteAddrB], v[vgprG2LB+13:vgprG2LB+13+0] offset:6276 // lwoB_0_0_6_3 = (0 + 0*LSCB) + (6*LSPB)(*MT1J+PAD) = 6276
s_waitcnt lgkmcnt(8)                               // lgkmcnt=0 vmcnt=-1wait for prior local read local write old=0, new=8 newLW=0 newLR=0
.align32 8, 0xbf800001                             // align v_pk_fma
MAC_4x4_X1

/* iter 30 (reset local read pointers iteration)  (swap and reset local write pointers iteration)  (swap local read pointers iteration)  */


/* local read a */
_ds_load_b64 v[vgprValuA_X1_I0+0:vgprValuA_X1_I0+0+1], v[vgprLocalReadAddrA] offset:20352 // L -> Reg lro=1984 swapByteOffset=16384 ti=8 vIdx=0 rIdx=0 oIdx=0 buffer=1 iui=0

/* local read b */
_ds_load_b64 v[vgprValuB_X1_I0+0:vgprValuB_X1_I0+0+1], v[vgprLocalReadAddrB] offset:24320 // L -> Reg lro=3968 swapByteOffset=16384 ti=16 vIdx=0 rIdx=0 oIdx=0 buffer=1 iui=0

/* local read increment a */
/* N/A, lro->2016 */
/* self.localReadDoCntA 0 self.localReadDoCntB 0 */

/* local read increment b */
/* N/A, lro->4032 */
/* self.localReadDoCntA 0 self.localReadDoCntB 0 */

/* local read a */
_ds_load_b64 v[vgprValuA_X1_I1+0:vgprValuA_X1_I1+0+1], v[vgprLocalReadAddrA] offset:20416 // L -> Reg lro=2016 swapByteOffset=16384 ti=8 vIdx=0 rIdx=0 oIdx=0 buffer=1 iui=1

/* local read b */
_ds_load_b64 v[vgprValuB_X1_I1+0:vgprValuB_X1_I1+0+1], v[vgprLocalReadAddrB] offset:24448 // L -> Reg lro=4032 swapByteOffset=16384 ti=16 vIdx=0 rIdx=0 oIdx=0 buffer=1 iui=1
/* sched write - iter 30 writesPerItem=4 */
s_waitcnt vmcnt(0)                                 // lgkmcnt=-1 vmcnt=0wait for global read before writing to local
_ds_store_b16 v[vgprLocalWriteAddrB], v[vgprG2LB+14:vgprG2LB+14+0] offset:7168 // lwoB_0_0_7_0 = (0 + 0*LSCB) + (7*LSPB)(*MT1J+PAD) = 7168
_ds_store_b16_d16_hi v[vgprLocalWriteAddrB], v[vgprG2LB+14:vgprG2LB+14+0] offset:7296 // lwoB_0_0_7_1 = (0 + 0*LSCB) + (7*LSPB)(*MT1J+PAD) = 7296
_ds_store_b16 v[vgprLocalWriteAddrB], v[vgprG2LB+15:vgprG2LB+15+0] offset:7172 // lwoB_0_0_7_2 = (0 + 0*LSCB) + (7*LSPB)(*MT1J+PAD) = 7172
_ds_store_b16_d16_hi v[vgprLocalWriteAddrB], v[vgprG2LB+15:vgprG2LB+15+0] offset:7300 // lwoB_0_0_7_3 = (0 + 0*LSCB) + (7*LSPB)(*MT1J+PAD) = 7300

/* local write swap offsets a */

/* (EPS=1) local write swap internal offset -> 16384 */

/* local write swap offsets b */

/* (EPS=1) local write swap internal offset -> 16384 */

/* local read swap offsets a */

/* local read swap internal offset -> 0 */

/* local read swap offsets b */

/* local read swap internal offset -> 0 */

/* local read init pointers a */

/* localReadInitPointers */

/* local read init pointers b */

/* localReadInitPointers */
s_waitcnt lgkmcnt(8)                               // lgkmcnt=0 vmcnt=-1wait for prior local read local write old=0, new=8 newLW=0 newLR=0
.align32 8, 0xbf800001                             // align v_pk_fma
MAC_4x4_X0

/* iter 31 */

s_waitcnt lgkmcnt(0)                               // lgkmcnt=0 vmcnt=-13wait for local write
s_waitcnt lgkmcnt(0) & vmcnt(0)                    // force waitcnt0
s_barrier //

/* local read a */
_ds_load_b64 v[vgprValuA_X0_I0+0:vgprValuA_X0_I0+0+1], v[vgprLocalReadAddrA] offset:0 // L -> Reg lro=0 swapByteOffset=0 ti=8 vIdx=0 rIdx=0 oIdx=0 buffer=0 iui=0

/* local read b */
_ds_load_b64 v[vgprValuB_X0_I0+0:vgprValuB_X0_I0+0+1], v[vgprLocalReadAddrB] offset:0 // L -> Reg lro=0 swapByteOffset=0 ti=16 vIdx=0 rIdx=0 oIdx=0 buffer=0 iui=0

/* local read increment a */
/* N/A, lro->32 */
/* self.localReadDoCntA 0 self.localReadDoCntB 0 */

/* local read increment b */
/* N/A, lro->64 */
/* self.localReadDoCntA 0 self.localReadDoCntB 0 */

/* local read a */
_ds_load_b64 v[vgprValuA_X0_I1+0:vgprValuA_X0_I1+0+1], v[vgprLocalReadAddrA] offset:64 // L -> Reg lro=32 swapByteOffset=0 ti=8 vIdx=0 rIdx=0 oIdx=0 buffer=0 iui=1

/* local read b */
_ds_load_b64 v[vgprValuB_X0_I1+0:vgprValuB_X0_I1+0+1], v[vgprLocalReadAddrB] offset:128 // L -> Reg lro=64 swapByteOffset=0 ti=16 vIdx=0 rIdx=0 oIdx=0 buffer=0 iui=1

/* local read increment a */
/* N/A, lro->64 */
/* self.localReadDoCntA 0 self.localReadDoCntB 0 */

/* local read increment b */
/* N/A, lro->128 */
/* self.localReadDoCntA 0 self.localReadDoCntB 0 */
s_waitcnt lgkmcnt(4)                               // lgkmcnt=0 vmcnt=-1wait for prior local read local write old=0, new=4 newLW=0 newLR=0
.align32 8, 0xbf800001                             // align v_pk_fma
MAC_4x4_X1

/******************************************/
/* Unrolled Loop - End 2/2 (final)        */
/******************************************/


/* closeLoop loopL finalLoop=1 tailLoop=0 */
s_sub_u32 s[sgprLoopCounterL], s[sgprLoopCounterL], 1 // dec counterL
s_cmp_eq_i32 s[sgprLoopCounterL], 0x1              // counterL==1
s_cbranch_scc0 LoopBeginL_1                        // restart LoopL
LoopEndL_evenexit_4: // unroll loop eveniter exit
s_branch LoopEndL_2                                // exit unroll loopL (and skip second exit code)
LoopEndL_oddexit_3: // unroll loop odditer exit

/* Select high bank of LDS */
v_xor_b32 v[vgprLocalReadAddrA], 0x4000, v[vgprLocalReadAddrA] // swap Red Blk
v_xor_b32 v[vgprLocalReadAddrB], 0x4000, v[vgprLocalReadAddrB] // swap Red Blk
LoopEndL_2:


/* Before NLL: Check VGPR.checkin for INT8 LW */


/******************************************/
/* Opt. NoLoadLoop Without PAP - Begin                                      */
/******************************************/

s_cmpk_eq_u32 s[sgprBeta], 0x0                     // Beta == 0
s_cbranch_scc0 OptNLL_End_17                       // Branch if Beta is not zero

s_cmp_eq_u32 s[sgprAlpha], 1.0                     // Alpha == 1.0 ?
s_cbranch_scc0 OptNLL_End_17                       // branch if alpha != 1

s_and_b32 s38, 31, s[sgprSizeI]                    // s38 = s[sgprSizeI] % 32
s_add_u32 s39, -0x1, s[sgprNumWorkGroups0]         // 
s_cmp_ge_u32 s[sgprWorkGroup0], s39                // wg0 >= nwg0-1 ?
s_cselect_b32 s38, s38, 0                          // set rMT0
s_cmpk_gt_u32 s38, 0x0                             // rMT0 > 0
s_cbranch_scc1 OptNLL_End_17                       // jump if edges required
s_and_b32 s38, 63, s[sgprSizeJ]                    // s38 = s[sgprSizeJ] % 64
s_add_u32 s39, -0x1, s[sgprNumWorkGroups1]         // 
s_cmp_ge_u32 s[sgprWorkGroup1], s39                // wg1 >= nwg1-1
s_cselect_b32 s38, s38, 0                          // set rMT1
s_cmpk_gt_u32 s38, 0x0                             // rMT1 > 0
s_cbranch_scc1 OptNLL_End_17                       // jump if edges required

s_and_b32 s39, 63, s[sgprSizesSum+0]               // s39 = s[sgprSizesSum+0] % 64
s_cmp_eq_u32 s39, 0x0                              // numIterL == 0
s_cbranch_scc0 OptNLL_End_17                       // skip if tail loop required



/* iter 0 (last unrolled loop) */


/* local read a */
_ds_load_b64 v[vgprValuA_X1_I0+0:vgprValuA_X1_I0+0+1], v[vgprLocalReadAddrA] offset:128 // L -> Reg lro=64 swapByteOffset=0 ti=8 vIdx=0 rIdx=0 oIdx=0 buffer=1 iui=0

/* local read b */
_ds_load_b64 v[vgprValuB_X1_I0+0:vgprValuB_X1_I0+0+1], v[vgprLocalReadAddrB] offset:256 // L -> Reg lro=128 swapByteOffset=0 ti=16 vIdx=0 rIdx=0 oIdx=0 buffer=1 iui=0

/* local read increment a */
/* N/A, lro->96 */
/* self.localReadDoCntA 0 self.localReadDoCntB 0 */

/* local read increment b */
/* N/A, lro->192 */
/* self.localReadDoCntA 0 self.localReadDoCntB 0 */

/* local read a */
_ds_load_b64 v[vgprValuA_X1_I1+0:vgprValuA_X1_I1+0+1], v[vgprLocalReadAddrA] offset:192 // L -> Reg lro=96 swapByteOffset=0 ti=8 vIdx=0 rIdx=0 oIdx=0 buffer=1 iui=1

/* local read b */
_ds_load_b64 v[vgprValuB_X1_I1+0:vgprValuB_X1_I1+0+1], v[vgprLocalReadAddrB] offset:384 // L -> Reg lro=192 swapByteOffset=0 ti=16 vIdx=0 rIdx=0 oIdx=0 buffer=1 iui=1

/* local read increment a */
/* N/A, lro->128 */
/* self.localReadDoCntA 0 self.localReadDoCntB 0 */

/* local read increment b */
/* N/A, lro->256 */
/* self.localReadDoCntA 0 self.localReadDoCntB 0 */
s_waitcnt lgkmcnt(4)                               // lgkmcnt=0 vmcnt=-1wait for prior local read local write old=0, new=4 newLW=0 newLR=0
.align32 8, 0xbf800001                             // align v_pk_fma
MAC_4x4_X0

/* iter 1 (last unrolled loop) */


/* local read a */
_ds_load_b64 v[vgprValuA_X0_I0+0:vgprValuA_X0_I0+0+1], v[vgprLocalReadAddrA] offset:256 // L -> Reg lro=128 swapByteOffset=0 ti=8 vIdx=0 rIdx=0 oIdx=0 buffer=0 iui=0

/* local read b */
_ds_load_b64 v[vgprValuB_X0_I0+0:vgprValuB_X0_I0+0+1], v[vgprLocalReadAddrB] offset:512 // L -> Reg lro=256 swapByteOffset=0 ti=16 vIdx=0 rIdx=0 oIdx=0 buffer=0 iui=0

/* local read increment a */
/* N/A, lro->160 */
/* self.localReadDoCntA 0 self.localReadDoCntB 0 */

/* local read increment b */
/* N/A, lro->320 */
/* self.localReadDoCntA 0 self.localReadDoCntB 0 */

/* local read a */
_ds_load_b64 v[vgprValuA_X0_I1+0:vgprValuA_X0_I1+0+1], v[vgprLocalReadAddrA] offset:320 // L -> Reg lro=160 swapByteOffset=0 ti=8 vIdx=0 rIdx=0 oIdx=0 buffer=0 iui=1

/* local read b */
_ds_load_b64 v[vgprValuB_X0_I1+0:vgprValuB_X0_I1+0+1], v[vgprLocalReadAddrB] offset:640 // L -> Reg lro=320 swapByteOffset=0 ti=16 vIdx=0 rIdx=0 oIdx=0 buffer=0 iui=1

/* local read increment a */
/* N/A, lro->192 */
/* self.localReadDoCntA 0 self.localReadDoCntB 0 */

/* local read increment b */
/* N/A, lro->384 */
/* self.localReadDoCntA 0 self.localReadDoCntB 0 */
s_waitcnt lgkmcnt(4)                               // lgkmcnt=0 vmcnt=-1wait for prior local read local write old=0, new=4 newLW=0 newLR=0
.align32 8, 0xbf800001                             // align v_pk_fma
MAC_4x4_X1

/* iter 2 (last unrolled loop) */


/* local read a */
_ds_load_b64 v[vgprValuA_X1_I0+0:vgprValuA_X1_I0+0+1], v[vgprLocalReadAddrA] offset:384 // L -> Reg lro=192 swapByteOffset=0 ti=8 vIdx=0 rIdx=0 oIdx=0 buffer=1 iui=0

/* local read b */
_ds_load_b64 v[vgprValuB_X1_I0+0:vgprValuB_X1_I0+0+1], v[vgprLocalReadAddrB] offset:768 // L -> Reg lro=384 swapByteOffset=0 ti=16 vIdx=0 rIdx=0 oIdx=0 buffer=1 iui=0

/* local read increment a */
/* N/A, lro->224 */
/* self.localReadDoCntA 0 self.localReadDoCntB 0 */

/* local read increment b */
/* N/A, lro->448 */
/* self.localReadDoCntA 0 self.localReadDoCntB 0 */

/* local read a */
_ds_load_b64 v[vgprValuA_X1_I1+0:vgprValuA_X1_I1+0+1], v[vgprLocalReadAddrA] offset:448 // L -> Reg lro=224 swapByteOffset=0 ti=8 vIdx=0 rIdx=0 oIdx=0 buffer=1 iui=1

/* local read b */
_ds_load_b64 v[vgprValuB_X1_I1+0:vgprValuB_X1_I1+0+1], v[vgprLocalReadAddrB] offset:896 // L -> Reg lro=448 swapByteOffset=0 ti=16 vIdx=0 rIdx=0 oIdx=0 buffer=1 iui=1

/* local read increment a */
/* N/A, lro->256 */
/* self.localReadDoCntA 0 self.localReadDoCntB 0 */

/* local read increment b */
/* N/A, lro->512 */
/* self.localReadDoCntA 0 self.localReadDoCntB 0 */
s_waitcnt lgkmcnt(4)                               // lgkmcnt=0 vmcnt=-1wait for prior local read local write old=0, new=4 newLW=0 newLR=0
.align32 8, 0xbf800001                             // align v_pk_fma
MAC_4x4_X0

/* iter 3 (last unrolled loop) */


/* local read a */
_ds_load_b64 v[vgprValuA_X0_I0+0:vgprValuA_X0_I0+0+1], v[vgprLocalReadAddrA] offset:512 // L -> Reg lro=256 swapByteOffset=0 ti=8 vIdx=0 rIdx=0 oIdx=0 buffer=0 iui=0

/* local read b */
_ds_load_b64 v[vgprValuB_X0_I0+0:vgprValuB_X0_I0+0+1], v[vgprLocalReadAddrB] offset:1024 // L -> Reg lro=512 swapByteOffset=0 ti=16 vIdx=0 rIdx=0 oIdx=0 buffer=0 iui=0

/* local read increment a */
/* N/A, lro->288 */
/* self.localReadDoCntA 0 self.localReadDoCntB 0 */

/* local read increment b */
/* N/A, lro->576 */
/* self.localReadDoCntA 0 self.localReadDoCntB 0 */

/* local read a */
_ds_load_b64 v[vgprValuA_X0_I1+0:vgprValuA_X0_I1+0+1], v[vgprLocalReadAddrA] offset:576 // L -> Reg lro=288 swapByteOffset=0 ti=8 vIdx=0 rIdx=0 oIdx=0 buffer=0 iui=1

/* local read b */
_ds_load_b64 v[vgprValuB_X0_I1+0:vgprValuB_X0_I1+0+1], v[vgprLocalReadAddrB] offset:1152 // L -> Reg lro=576 swapByteOffset=0 ti=16 vIdx=0 rIdx=0 oIdx=0 buffer=0 iui=1

/* local read increment a */
/* N/A, lro->320 */
/* self.localReadDoCntA 0 self.localReadDoCntB 0 */

/* local read increment b */
/* N/A, lro->640 */
/* self.localReadDoCntA 0 self.localReadDoCntB 0 */
s_waitcnt lgkmcnt(4)                               // lgkmcnt=0 vmcnt=-1wait for prior local read local write old=0, new=4 newLW=0 newLR=0
.align32 8, 0xbf800001                             // align v_pk_fma
MAC_4x4_X1

/* iter 4 (last unrolled loop) */


/* local read a */
_ds_load_b64 v[vgprValuA_X1_I0+0:vgprValuA_X1_I0+0+1], v[vgprLocalReadAddrA] offset:640 // L -> Reg lro=320 swapByteOffset=0 ti=8 vIdx=0 rIdx=0 oIdx=0 buffer=1 iui=0

/* local read b */
_ds_load_b64 v[vgprValuB_X1_I0+0:vgprValuB_X1_I0+0+1], v[vgprLocalReadAddrB] offset:1280 // L -> Reg lro=640 swapByteOffset=0 ti=16 vIdx=0 rIdx=0 oIdx=0 buffer=1 iui=0

/* local read increment a */
/* N/A, lro->352 */
/* self.localReadDoCntA 0 self.localReadDoCntB 0 */

/* local read increment b */
/* N/A, lro->704 */
/* self.localReadDoCntA 0 self.localReadDoCntB 0 */

/* local read a */
_ds_load_b64 v[vgprValuA_X1_I1+0:vgprValuA_X1_I1+0+1], v[vgprLocalReadAddrA] offset:704 // L -> Reg lro=352 swapByteOffset=0 ti=8 vIdx=0 rIdx=0 oIdx=0 buffer=1 iui=1

/* local read b */
_ds_load_b64 v[vgprValuB_X1_I1+0:vgprValuB_X1_I1+0+1], v[vgprLocalReadAddrB] offset:1408 // L -> Reg lro=704 swapByteOffset=0 ti=16 vIdx=0 rIdx=0 oIdx=0 buffer=1 iui=1

/* local read increment a */
/* N/A, lro->384 */
/* self.localReadDoCntA 0 self.localReadDoCntB 0 */

/* local read increment b */
/* N/A, lro->768 */
/* self.localReadDoCntA 0 self.localReadDoCntB 0 */
s_waitcnt lgkmcnt(4)                               // lgkmcnt=0 vmcnt=-1wait for prior local read local write old=0, new=4 newLW=0 newLR=0
.align32 8, 0xbf800001                             // align v_pk_fma
MAC_4x4_X0

/* iter 5 (last unrolled loop) */


/* local read a */
_ds_load_b64 v[vgprValuA_X0_I0+0:vgprValuA_X0_I0+0+1], v[vgprLocalReadAddrA] offset:768 // L -> Reg lro=384 swapByteOffset=0 ti=8 vIdx=0 rIdx=0 oIdx=0 buffer=0 iui=0

/* local read b */
_ds_load_b64 v[vgprValuB_X0_I0+0:vgprValuB_X0_I0+0+1], v[vgprLocalReadAddrB] offset:1536 // L -> Reg lro=768 swapByteOffset=0 ti=16 vIdx=0 rIdx=0 oIdx=0 buffer=0 iui=0

/* local read increment a */
/* N/A, lro->416 */
/* self.localReadDoCntA 0 self.localReadDoCntB 0 */

/* local read increment b */
/* N/A, lro->832 */
/* self.localReadDoCntA 0 self.localReadDoCntB 0 */

/* local read a */
_ds_load_b64 v[vgprValuA_X0_I1+0:vgprValuA_X0_I1+0+1], v[vgprLocalReadAddrA] offset:832 // L -> Reg lro=416 swapByteOffset=0 ti=8 vIdx=0 rIdx=0 oIdx=0 buffer=0 iui=1

/* local read b */
_ds_load_b64 v[vgprValuB_X0_I1+0:vgprValuB_X0_I1+0+1], v[vgprLocalReadAddrB] offset:1664 // L -> Reg lro=832 swapByteOffset=0 ti=16 vIdx=0 rIdx=0 oIdx=0 buffer=0 iui=1

/* local read increment a */
/* N/A, lro->448 */
/* self.localReadDoCntA 0 self.localReadDoCntB 0 */

/* local read increment b */
/* N/A, lro->896 */
/* self.localReadDoCntA 0 self.localReadDoCntB 0 */
s_waitcnt lgkmcnt(4)                               // lgkmcnt=0 vmcnt=-1wait for prior local read local write old=0, new=4 newLW=0 newLR=0
.align32 8, 0xbf800001                             // align v_pk_fma
MAC_4x4_X1

/* iter 6 (last unrolled loop) */


/* local read a */
_ds_load_b64 v[vgprValuA_X1_I0+0:vgprValuA_X1_I0+0+1], v[vgprLocalReadAddrA] offset:896 // L -> Reg lro=448 swapByteOffset=0 ti=8 vIdx=0 rIdx=0 oIdx=0 buffer=1 iui=0

/* local read b */
_ds_load_b64 v[vgprValuB_X1_I0+0:vgprValuB_X1_I0+0+1], v[vgprLocalReadAddrB] offset:1792 // L -> Reg lro=896 swapByteOffset=0 ti=16 vIdx=0 rIdx=0 oIdx=0 buffer=1 iui=0

/* local read increment a */
/* N/A, lro->480 */
/* self.localReadDoCntA 0 self.localReadDoCntB 0 */

/* local read increment b */
/* N/A, lro->960 */
/* self.localReadDoCntA 0 self.localReadDoCntB 0 */

/* local read a */
_ds_load_b64 v[vgprValuA_X1_I1+0:vgprValuA_X1_I1+0+1], v[vgprLocalReadAddrA] offset:960 // L -> Reg lro=480 swapByteOffset=0 ti=8 vIdx=0 rIdx=0 oIdx=0 buffer=1 iui=1

/* local read b */
_ds_load_b64 v[vgprValuB_X1_I1+0:vgprValuB_X1_I1+0+1], v[vgprLocalReadAddrB] offset:1920 // L -> Reg lro=960 swapByteOffset=0 ti=16 vIdx=0 rIdx=0 oIdx=0 buffer=1 iui=1

/* local read increment a */
/* N/A, lro->512 */
/* self.localReadDoCntA 0 self.localReadDoCntB 0 */

/* local read increment b */
/* N/A, lro->1024 */
/* self.localReadDoCntA 0 self.localReadDoCntB 0 */
s_waitcnt lgkmcnt(4)                               // lgkmcnt=0 vmcnt=-1wait for prior local read local write old=0, new=4 newLW=0 newLR=0
.align32 8, 0xbf800001                             // align v_pk_fma
MAC_4x4_X0

/* iter 7 (last unrolled loop) */


/* local read a */
_ds_load_b64 v[vgprValuA_X0_I0+0:vgprValuA_X0_I0+0+1], v[vgprLocalReadAddrA] offset:1024 // L -> Reg lro=512 swapByteOffset=0 ti=8 vIdx=0 rIdx=0 oIdx=0 buffer=0 iui=0

/* local read b */
_ds_load_b64 v[vgprValuB_X0_I0+0:vgprValuB_X0_I0+0+1], v[vgprLocalReadAddrB] offset:2048 // L -> Reg lro=1024 swapByteOffset=0 ti=16 vIdx=0 rIdx=0 oIdx=0 buffer=0 iui=0

/* local read increment a */
/* N/A, lro->544 */
/* self.localReadDoCntA 0 self.localReadDoCntB 0 */

/* local read increment b */
/* N/A, lro->1088 */
/* self.localReadDoCntA 0 self.localReadDoCntB 0 */

/* local read a */
_ds_load_b64 v[vgprValuA_X0_I1+0:vgprValuA_X0_I1+0+1], v[vgprLocalReadAddrA] offset:1088 // L -> Reg lro=544 swapByteOffset=0 ti=8 vIdx=0 rIdx=0 oIdx=0 buffer=0 iui=1

/* local read b */
_ds_load_b64 v[vgprValuB_X0_I1+0:vgprValuB_X0_I1+0+1], v[vgprLocalReadAddrB] offset:2176 // L -> Reg lro=1088 swapByteOffset=0 ti=16 vIdx=0 rIdx=0 oIdx=0 buffer=0 iui=1

/* local read increment a */
/* N/A, lro->576 */
/* self.localReadDoCntA 0 self.localReadDoCntB 0 */

/* local read increment b */
/* N/A, lro->1152 */
/* self.localReadDoCntA 0 self.localReadDoCntB 0 */
s_waitcnt lgkmcnt(4)                               // lgkmcnt=0 vmcnt=-1wait for prior local read local write old=0, new=4 newLW=0 newLR=0
.align32 8, 0xbf800001                             // align v_pk_fma
MAC_4x4_X1

/* iter 8 (last unrolled loop) */


/* local read a */
_ds_load_b64 v[vgprValuA_X1_I0+0:vgprValuA_X1_I0+0+1], v[vgprLocalReadAddrA] offset:1152 // L -> Reg lro=576 swapByteOffset=0 ti=8 vIdx=0 rIdx=0 oIdx=0 buffer=1 iui=0

/* local read b */
_ds_load_b64 v[vgprValuB_X1_I0+0:vgprValuB_X1_I0+0+1], v[vgprLocalReadAddrB] offset:2304 // L -> Reg lro=1152 swapByteOffset=0 ti=16 vIdx=0 rIdx=0 oIdx=0 buffer=1 iui=0

/* local read increment a */
/* N/A, lro->608 */
/* self.localReadDoCntA 0 self.localReadDoCntB 0 */

/* local read increment b */
/* N/A, lro->1216 */
/* self.localReadDoCntA 0 self.localReadDoCntB 0 */

/* local read a */
_ds_load_b64 v[vgprValuA_X1_I1+0:vgprValuA_X1_I1+0+1], v[vgprLocalReadAddrA] offset:1216 // L -> Reg lro=608 swapByteOffset=0 ti=8 vIdx=0 rIdx=0 oIdx=0 buffer=1 iui=1

/* local read b */
_ds_load_b64 v[vgprValuB_X1_I1+0:vgprValuB_X1_I1+0+1], v[vgprLocalReadAddrB] offset:2432 // L -> Reg lro=1216 swapByteOffset=0 ti=16 vIdx=0 rIdx=0 oIdx=0 buffer=1 iui=1

/* local read increment a */
/* N/A, lro->640 */
/* self.localReadDoCntA 0 self.localReadDoCntB 0 */

/* local read increment b */
/* N/A, lro->1280 */
/* self.localReadDoCntA 0 self.localReadDoCntB 0 */
s_waitcnt lgkmcnt(4)                               // lgkmcnt=0 vmcnt=-1wait for prior local read local write old=0, new=4 newLW=0 newLR=0
.align32 8, 0xbf800001                             // align v_pk_fma
MAC_4x4_X0

/* iter 9 (last unrolled loop) */


/* local read a */
_ds_load_b64 v[vgprValuA_X0_I0+0:vgprValuA_X0_I0+0+1], v[vgprLocalReadAddrA] offset:1280 // L -> Reg lro=640 swapByteOffset=0 ti=8 vIdx=0 rIdx=0 oIdx=0 buffer=0 iui=0

/* local read b */
_ds_load_b64 v[vgprValuB_X0_I0+0:vgprValuB_X0_I0+0+1], v[vgprLocalReadAddrB] offset:2560 // L -> Reg lro=1280 swapByteOffset=0 ti=16 vIdx=0 rIdx=0 oIdx=0 buffer=0 iui=0

/* local read increment a */
/* N/A, lro->672 */
/* self.localReadDoCntA 0 self.localReadDoCntB 0 */

/* local read increment b */
/* N/A, lro->1344 */
/* self.localReadDoCntA 0 self.localReadDoCntB 0 */

/* local read a */
_ds_load_b64 v[vgprValuA_X0_I1+0:vgprValuA_X0_I1+0+1], v[vgprLocalReadAddrA] offset:1344 // L -> Reg lro=672 swapByteOffset=0 ti=8 vIdx=0 rIdx=0 oIdx=0 buffer=0 iui=1

/* local read b */
_ds_load_b64 v[vgprValuB_X0_I1+0:vgprValuB_X0_I1+0+1], v[vgprLocalReadAddrB] offset:2688 // L -> Reg lro=1344 swapByteOffset=0 ti=16 vIdx=0 rIdx=0 oIdx=0 buffer=0 iui=1

/* local read increment a */
/* N/A, lro->704 */
/* self.localReadDoCntA 0 self.localReadDoCntB 0 */

/* local read increment b */
/* N/A, lro->1408 */
/* self.localReadDoCntA 0 self.localReadDoCntB 0 */
s_waitcnt lgkmcnt(4)                               // lgkmcnt=0 vmcnt=-1wait for prior local read local write old=0, new=4 newLW=0 newLR=0
.align32 8, 0xbf800001                             // align v_pk_fma
MAC_4x4_X1

/* iter 10 (last unrolled loop) */


/* local read a */
_ds_load_b64 v[vgprValuA_X1_I0+0:vgprValuA_X1_I0+0+1], v[vgprLocalReadAddrA] offset:1408 // L -> Reg lro=704 swapByteOffset=0 ti=8 vIdx=0 rIdx=0 oIdx=0 buffer=1 iui=0

/* local read b */
_ds_load_b64 v[vgprValuB_X1_I0+0:vgprValuB_X1_I0+0+1], v[vgprLocalReadAddrB] offset:2816 // L -> Reg lro=1408 swapByteOffset=0 ti=16 vIdx=0 rIdx=0 oIdx=0 buffer=1 iui=0

/* local read increment a */
/* N/A, lro->736 */
/* self.localReadDoCntA 0 self.localReadDoCntB 0 */

/* local read increment b */
/* N/A, lro->1472 */
/* self.localReadDoCntA 0 self.localReadDoCntB 0 */

/* local read a */
_ds_load_b64 v[vgprValuA_X1_I1+0:vgprValuA_X1_I1+0+1], v[vgprLocalReadAddrA] offset:1472 // L -> Reg lro=736 swapByteOffset=0 ti=8 vIdx=0 rIdx=0 oIdx=0 buffer=1 iui=1

/* local read b */
_ds_load_b64 v[vgprValuB_X1_I1+0:vgprValuB_X1_I1+0+1], v[vgprLocalReadAddrB] offset:2944 // L -> Reg lro=1472 swapByteOffset=0 ti=16 vIdx=0 rIdx=0 oIdx=0 buffer=1 iui=1

/* local read increment a */
/* N/A, lro->768 */
/* self.localReadDoCntA 0 self.localReadDoCntB 0 */

/* local read increment b */
/* N/A, lro->1536 */
/* self.localReadDoCntA 0 self.localReadDoCntB 0 */
s_waitcnt lgkmcnt(4)                               // lgkmcnt=0 vmcnt=-1wait for prior local read local write old=0, new=4 newLW=0 newLR=0
.align32 8, 0xbf800001                             // align v_pk_fma
MAC_4x4_X0

/* iter 11 (last unrolled loop) */


/* local read a */
_ds_load_b64 v[vgprValuA_X0_I0+0:vgprValuA_X0_I0+0+1], v[vgprLocalReadAddrA] offset:1536 // L -> Reg lro=768 swapByteOffset=0 ti=8 vIdx=0 rIdx=0 oIdx=0 buffer=0 iui=0

/* local read b */
_ds_load_b64 v[vgprValuB_X0_I0+0:vgprValuB_X0_I0+0+1], v[vgprLocalReadAddrB] offset:3072 // L -> Reg lro=1536 swapByteOffset=0 ti=16 vIdx=0 rIdx=0 oIdx=0 buffer=0 iui=0

/* local read increment a */
/* N/A, lro->800 */
/* self.localReadDoCntA 0 self.localReadDoCntB 0 */

/* local read increment b */
/* N/A, lro->1600 */
/* self.localReadDoCntA 0 self.localReadDoCntB 0 */

/* local read a */
_ds_load_b64 v[vgprValuA_X0_I1+0:vgprValuA_X0_I1+0+1], v[vgprLocalReadAddrA] offset:1600 // L -> Reg lro=800 swapByteOffset=0 ti=8 vIdx=0 rIdx=0 oIdx=0 buffer=0 iui=1

/* local read b */
_ds_load_b64 v[vgprValuB_X0_I1+0:vgprValuB_X0_I1+0+1], v[vgprLocalReadAddrB] offset:3200 // L -> Reg lro=1600 swapByteOffset=0 ti=16 vIdx=0 rIdx=0 oIdx=0 buffer=0 iui=1

/* local read increment a */
/* N/A, lro->832 */
/* self.localReadDoCntA 0 self.localReadDoCntB 0 */

/* local read increment b */
/* N/A, lro->1664 */
/* self.localReadDoCntA 0 self.localReadDoCntB 0 */
s_waitcnt lgkmcnt(4)                               // lgkmcnt=0 vmcnt=-1wait for prior local read local write old=0, new=4 newLW=0 newLR=0
.align32 8, 0xbf800001                             // align v_pk_fma
MAC_4x4_X1

/* iter 12 (last unrolled loop) */


/* local read a */
_ds_load_b64 v[vgprValuA_X1_I0+0:vgprValuA_X1_I0+0+1], v[vgprLocalReadAddrA] offset:1664 // L -> Reg lro=832 swapByteOffset=0 ti=8 vIdx=0 rIdx=0 oIdx=0 buffer=1 iui=0

/* local read b */
_ds_load_b64 v[vgprValuB_X1_I0+0:vgprValuB_X1_I0+0+1], v[vgprLocalReadAddrB] offset:3328 // L -> Reg lro=1664 swapByteOffset=0 ti=16 vIdx=0 rIdx=0 oIdx=0 buffer=1 iui=0

/* local read increment a */
/* N/A, lro->864 */
/* self.localReadDoCntA 0 self.localReadDoCntB 0 */

/* local read increment b */
/* N/A, lro->1728 */
/* self.localReadDoCntA 0 self.localReadDoCntB 0 */

/* local read a */
_ds_load_b64 v[vgprValuA_X1_I1+0:vgprValuA_X1_I1+0+1], v[vgprLocalReadAddrA] offset:1728 // L -> Reg lro=864 swapByteOffset=0 ti=8 vIdx=0 rIdx=0 oIdx=0 buffer=1 iui=1

/* local read b */
_ds_load_b64 v[vgprValuB_X1_I1+0:vgprValuB_X1_I1+0+1], v[vgprLocalReadAddrB] offset:3456 // L -> Reg lro=1728 swapByteOffset=0 ti=16 vIdx=0 rIdx=0 oIdx=0 buffer=1 iui=1

/* local read increment a */
/* N/A, lro->896 */
/* self.localReadDoCntA 0 self.localReadDoCntB 0 */

/* local read increment b */
/* N/A, lro->1792 */
/* self.localReadDoCntA 0 self.localReadDoCntB 0 */
s_waitcnt lgkmcnt(4)                               // lgkmcnt=0 vmcnt=-1wait for prior local read local write old=0, new=4 newLW=0 newLR=0
.align32 8, 0xbf800001                             // align v_pk_fma
MAC_4x4_X0

/* iter 13 (last unrolled loop) */


/* local read a */
_ds_load_b64 v[vgprValuA_X0_I0+0:vgprValuA_X0_I0+0+1], v[vgprLocalReadAddrA] offset:1792 // L -> Reg lro=896 swapByteOffset=0 ti=8 vIdx=0 rIdx=0 oIdx=0 buffer=0 iui=0

/* local read b */
_ds_load_b64 v[vgprValuB_X0_I0+0:vgprValuB_X0_I0+0+1], v[vgprLocalReadAddrB] offset:3584 // L -> Reg lro=1792 swapByteOffset=0 ti=16 vIdx=0 rIdx=0 oIdx=0 buffer=0 iui=0

/* local read increment a */
/* N/A, lro->928 */
/* self.localReadDoCntA 0 self.localReadDoCntB 0 */

/* local read increment b */
/* N/A, lro->1856 */
/* self.localReadDoCntA 0 self.localReadDoCntB 0 */

/* local read a */
_ds_load_b64 v[vgprValuA_X0_I1+0:vgprValuA_X0_I1+0+1], v[vgprLocalReadAddrA] offset:1856 // L -> Reg lro=928 swapByteOffset=0 ti=8 vIdx=0 rIdx=0 oIdx=0 buffer=0 iui=1

/* local read b */
_ds_load_b64 v[vgprValuB_X0_I1+0:vgprValuB_X0_I1+0+1], v[vgprLocalReadAddrB] offset:3712 // L -> Reg lro=1856 swapByteOffset=0 ti=16 vIdx=0 rIdx=0 oIdx=0 buffer=0 iui=1

/* local read increment a */
/* N/A, lro->960 */
/* self.localReadDoCntA 0 self.localReadDoCntB 0 */

/* local read increment b */
/* N/A, lro->1920 */
/* self.localReadDoCntA 0 self.localReadDoCntB 0 */
s_waitcnt lgkmcnt(4)                               // lgkmcnt=0 vmcnt=-1wait for prior local read local write old=0, new=4 newLW=0 newLR=0
.align32 8, 0xbf800001                             // align v_pk_fma
MAC_4x4_X1

/* iter 14 (last unrolled loop) */


/* local read a */
_ds_load_b64 v[vgprValuA_X1_I0+0:vgprValuA_X1_I0+0+1], v[vgprLocalReadAddrA] offset:1920 // L -> Reg lro=960 swapByteOffset=0 ti=8 vIdx=0 rIdx=0 oIdx=0 buffer=1 iui=0

/* local read b */
_ds_load_b64 v[vgprValuB_X1_I0+0:vgprValuB_X1_I0+0+1], v[vgprLocalReadAddrB] offset:3840 // L -> Reg lro=1920 swapByteOffset=0 ti=16 vIdx=0 rIdx=0 oIdx=0 buffer=1 iui=0

/* local read increment a */
/* N/A, lro->992 */
/* self.localReadDoCntA 0 self.localReadDoCntB 0 */

/* local read increment b */
/* N/A, lro->1984 */
/* self.localReadDoCntA 0 self.localReadDoCntB 0 */

/* local read a */
_ds_load_b64 v[vgprValuA_X1_I1+0:vgprValuA_X1_I1+0+1], v[vgprLocalReadAddrA] offset:1984 // L -> Reg lro=992 swapByteOffset=0 ti=8 vIdx=0 rIdx=0 oIdx=0 buffer=1 iui=1

/* local read b */
_ds_load_b64 v[vgprValuB_X1_I1+0:vgprValuB_X1_I1+0+1], v[vgprLocalReadAddrB] offset:3968 // L -> Reg lro=1984 swapByteOffset=0 ti=16 vIdx=0 rIdx=0 oIdx=0 buffer=1 iui=1

/* local read increment a */
/* N/A, lro->1024 */
/* self.localReadDoCntA 0 self.localReadDoCntB 0 */

/* local read increment b */
/* N/A, lro->2048 */
/* self.localReadDoCntA 0 self.localReadDoCntB 0 */
s_waitcnt lgkmcnt(4)                               // lgkmcnt=0 vmcnt=-1wait for prior local read local write old=0, new=4 newLW=0 newLR=0
.align32 8, 0xbf800001                             // align v_pk_fma
MAC_4x4_X0

/* iter 15 (last unrolled loop) */


/* local read a */
_ds_load_b64 v[vgprValuA_X0_I0+0:vgprValuA_X0_I0+0+1], v[vgprLocalReadAddrA] offset:2048 // L -> Reg lro=1024 swapByteOffset=0 ti=8 vIdx=0 rIdx=0 oIdx=0 buffer=0 iui=0

/* local read b */
_ds_load_b64 v[vgprValuB_X0_I0+0:vgprValuB_X0_I0+0+1], v[vgprLocalReadAddrB] offset:4096 // L -> Reg lro=2048 swapByteOffset=0 ti=16 vIdx=0 rIdx=0 oIdx=0 buffer=0 iui=0

/* local read increment a */
/* N/A, lro->1056 */
/* self.localReadDoCntA 0 self.localReadDoCntB 0 */

/* local read increment b */
/* N/A, lro->2112 */
/* self.localReadDoCntA 0 self.localReadDoCntB 0 */

/* local read a */
_ds_load_b64 v[vgprValuA_X0_I1+0:vgprValuA_X0_I1+0+1], v[vgprLocalReadAddrA] offset:2112 // L -> Reg lro=1056 swapByteOffset=0 ti=8 vIdx=0 rIdx=0 oIdx=0 buffer=0 iui=1

/* local read b */
_ds_load_b64 v[vgprValuB_X0_I1+0:vgprValuB_X0_I1+0+1], v[vgprLocalReadAddrB] offset:4224 // L -> Reg lro=2112 swapByteOffset=0 ti=16 vIdx=0 rIdx=0 oIdx=0 buffer=0 iui=1

/* local read increment a */
/* N/A, lro->1088 */
/* self.localReadDoCntA 0 self.localReadDoCntB 0 */

/* local read increment b */
/* N/A, lro->2176 */
/* self.localReadDoCntA 0 self.localReadDoCntB 0 */
s_waitcnt lgkmcnt(4)                               // lgkmcnt=0 vmcnt=-1wait for prior local read local write old=0, new=4 newLW=0 newLR=0
.align32 8, 0xbf800001                             // align v_pk_fma
MAC_4x4_X1

/* iter 16 (last unrolled loop) */


/* local read a */
_ds_load_b64 v[vgprValuA_X1_I0+0:vgprValuA_X1_I0+0+1], v[vgprLocalReadAddrA] offset:2176 // L -> Reg lro=1088 swapByteOffset=0 ti=8 vIdx=0 rIdx=0 oIdx=0 buffer=1 iui=0

/* local read b */
_ds_load_b64 v[vgprValuB_X1_I0+0:vgprValuB_X1_I0+0+1], v[vgprLocalReadAddrB] offset:4352 // L -> Reg lro=2176 swapByteOffset=0 ti=16 vIdx=0 rIdx=0 oIdx=0 buffer=1 iui=0

/* local read increment a */
/* N/A, lro->1120 */
/* self.localReadDoCntA 0 self.localReadDoCntB 0 */

/* local read increment b */
/* N/A, lro->2240 */
/* self.localReadDoCntA 0 self.localReadDoCntB 0 */

/* local read a */
_ds_load_b64 v[vgprValuA_X1_I1+0:vgprValuA_X1_I1+0+1], v[vgprLocalReadAddrA] offset:2240 // L -> Reg lro=1120 swapByteOffset=0 ti=8 vIdx=0 rIdx=0 oIdx=0 buffer=1 iui=1

/* local read b */
_ds_load_b64 v[vgprValuB_X1_I1+0:vgprValuB_X1_I1+0+1], v[vgprLocalReadAddrB] offset:4480 // L -> Reg lro=2240 swapByteOffset=0 ti=16 vIdx=0 rIdx=0 oIdx=0 buffer=1 iui=1

/* local read increment a */
/* N/A, lro->1152 */
/* self.localReadDoCntA 0 self.localReadDoCntB 0 */

/* local read increment b */
/* N/A, lro->2304 */
/* self.localReadDoCntA 0 self.localReadDoCntB 0 */
s_waitcnt lgkmcnt(4)                               // lgkmcnt=0 vmcnt=-1wait for prior local read local write old=0, new=4 newLW=0 newLR=0
.align32 8, 0xbf800001                             // align v_pk_fma
MAC_4x4_X0

/* iter 17 (last unrolled loop) */


/* local read a */
_ds_load_b64 v[vgprValuA_X0_I0+0:vgprValuA_X0_I0+0+1], v[vgprLocalReadAddrA] offset:2304 // L -> Reg lro=1152 swapByteOffset=0 ti=8 vIdx=0 rIdx=0 oIdx=0 buffer=0 iui=0

/* local read b */
_ds_load_b64 v[vgprValuB_X0_I0+0:vgprValuB_X0_I0+0+1], v[vgprLocalReadAddrB] offset:4608 // L -> Reg lro=2304 swapByteOffset=0 ti=16 vIdx=0 rIdx=0 oIdx=0 buffer=0 iui=0

/* local read increment a */
/* N/A, lro->1184 */
/* self.localReadDoCntA 0 self.localReadDoCntB 0 */

/* local read increment b */
/* N/A, lro->2368 */
/* self.localReadDoCntA 0 self.localReadDoCntB 0 */

/* local read a */
_ds_load_b64 v[vgprValuA_X0_I1+0:vgprValuA_X0_I1+0+1], v[vgprLocalReadAddrA] offset:2368 // L -> Reg lro=1184 swapByteOffset=0 ti=8 vIdx=0 rIdx=0 oIdx=0 buffer=0 iui=1

/* local read b */
_ds_load_b64 v[vgprValuB_X0_I1+0:vgprValuB_X0_I1+0+1], v[vgprLocalReadAddrB] offset:4736 // L -> Reg lro=2368 swapByteOffset=0 ti=16 vIdx=0 rIdx=0 oIdx=0 buffer=0 iui=1

/* local read increment a */
/* N/A, lro->1216 */
/* self.localReadDoCntA 0 self.localReadDoCntB 0 */

/* local read increment b */
/* N/A, lro->2432 */
/* self.localReadDoCntA 0 self.localReadDoCntB 0 */
s_waitcnt lgkmcnt(4)                               // lgkmcnt=0 vmcnt=-1wait for prior local read local write old=0, new=4 newLW=0 newLR=0
.align32 8, 0xbf800001                             // align v_pk_fma
MAC_4x4_X1

/* iter 18 (last unrolled loop) */


/* local read a */
_ds_load_b64 v[vgprValuA_X1_I0+0:vgprValuA_X1_I0+0+1], v[vgprLocalReadAddrA] offset:2432 // L -> Reg lro=1216 swapByteOffset=0 ti=8 vIdx=0 rIdx=0 oIdx=0 buffer=1 iui=0

/* local read b */
_ds_load_b64 v[vgprValuB_X1_I0+0:vgprValuB_X1_I0+0+1], v[vgprLocalReadAddrB] offset:4864 // L -> Reg lro=2432 swapByteOffset=0 ti=16 vIdx=0 rIdx=0 oIdx=0 buffer=1 iui=0

/* local read increment a */
/* N/A, lro->1248 */
/* self.localReadDoCntA 0 self.localReadDoCntB 0 */

/* local read increment b */
/* N/A, lro->2496 */
/* self.localReadDoCntA 0 self.localReadDoCntB 0 */

/* local read a */
_ds_load_b64 v[vgprValuA_X1_I1+0:vgprValuA_X1_I1+0+1], v[vgprLocalReadAddrA] offset:2496 // L -> Reg lro=1248 swapByteOffset=0 ti=8 vIdx=0 rIdx=0 oIdx=0 buffer=1 iui=1

/* local read b */
_ds_load_b64 v[vgprValuB_X1_I1+0:vgprValuB_X1_I1+0+1], v[vgprLocalReadAddrB] offset:4992 // L -> Reg lro=2496 swapByteOffset=0 ti=16 vIdx=0 rIdx=0 oIdx=0 buffer=1 iui=1

/* local read increment a */
/* N/A, lro->1280 */
/* self.localReadDoCntA 0 self.localReadDoCntB 0 */

/* local read increment b */
/* N/A, lro->2560 */
/* self.localReadDoCntA 0 self.localReadDoCntB 0 */
s_waitcnt lgkmcnt(4)                               // lgkmcnt=0 vmcnt=-1wait for prior local read local write old=0, new=4 newLW=0 newLR=0
.align32 8, 0xbf800001                             // align v_pk_fma
MAC_4x4_X0

/* iter 19 (last unrolled loop) */


/* local read a */
_ds_load_b64 v[vgprValuA_X0_I0+0:vgprValuA_X0_I0+0+1], v[vgprLocalReadAddrA] offset:2560 // L -> Reg lro=1280 swapByteOffset=0 ti=8 vIdx=0 rIdx=0 oIdx=0 buffer=0 iui=0

/* local read b */
_ds_load_b64 v[vgprValuB_X0_I0+0:vgprValuB_X0_I0+0+1], v[vgprLocalReadAddrB] offset:5120 // L -> Reg lro=2560 swapByteOffset=0 ti=16 vIdx=0 rIdx=0 oIdx=0 buffer=0 iui=0

/* local read increment a */
/* N/A, lro->1312 */
/* self.localReadDoCntA 0 self.localReadDoCntB 0 */

/* local read increment b */
/* N/A, lro->2624 */
/* self.localReadDoCntA 0 self.localReadDoCntB 0 */

/* local read a */
_ds_load_b64 v[vgprValuA_X0_I1+0:vgprValuA_X0_I1+0+1], v[vgprLocalReadAddrA] offset:2624 // L -> Reg lro=1312 swapByteOffset=0 ti=8 vIdx=0 rIdx=0 oIdx=0 buffer=0 iui=1

/* local read b */
_ds_load_b64 v[vgprValuB_X0_I1+0:vgprValuB_X0_I1+0+1], v[vgprLocalReadAddrB] offset:5248 // L -> Reg lro=2624 swapByteOffset=0 ti=16 vIdx=0 rIdx=0 oIdx=0 buffer=0 iui=1

/* local read increment a */
/* N/A, lro->1344 */
/* self.localReadDoCntA 0 self.localReadDoCntB 0 */

/* local read increment b */
/* N/A, lro->2688 */
/* self.localReadDoCntA 0 self.localReadDoCntB 0 */
s_waitcnt lgkmcnt(4)                               // lgkmcnt=0 vmcnt=-1wait for prior local read local write old=0, new=4 newLW=0 newLR=0
.align32 8, 0xbf800001                             // align v_pk_fma
MAC_4x4_X1

/* iter 20 (last unrolled loop) */


/* local read a */
_ds_load_b64 v[vgprValuA_X1_I0+0:vgprValuA_X1_I0+0+1], v[vgprLocalReadAddrA] offset:2688 // L -> Reg lro=1344 swapByteOffset=0 ti=8 vIdx=0 rIdx=0 oIdx=0 buffer=1 iui=0

/* local read b */
_ds_load_b64 v[vgprValuB_X1_I0+0:vgprValuB_X1_I0+0+1], v[vgprLocalReadAddrB] offset:5376 // L -> Reg lro=2688 swapByteOffset=0 ti=16 vIdx=0 rIdx=0 oIdx=0 buffer=1 iui=0

/* local read increment a */
/* N/A, lro->1376 */
/* self.localReadDoCntA 0 self.localReadDoCntB 0 */

/* local read increment b */
/* N/A, lro->2752 */
/* self.localReadDoCntA 0 self.localReadDoCntB 0 */

/* local read a */
_ds_load_b64 v[vgprValuA_X1_I1+0:vgprValuA_X1_I1+0+1], v[vgprLocalReadAddrA] offset:2752 // L -> Reg lro=1376 swapByteOffset=0 ti=8 vIdx=0 rIdx=0 oIdx=0 buffer=1 iui=1

/* local read b */
_ds_load_b64 v[vgprValuB_X1_I1+0:vgprValuB_X1_I1+0+1], v[vgprLocalReadAddrB] offset:5504 // L -> Reg lro=2752 swapByteOffset=0 ti=16 vIdx=0 rIdx=0 oIdx=0 buffer=1 iui=1

/* local read increment a */
/* N/A, lro->1408 */
/* self.localReadDoCntA 0 self.localReadDoCntB 0 */

/* local read increment b */
/* N/A, lro->2816 */
/* self.localReadDoCntA 0 self.localReadDoCntB 0 */
s_waitcnt lgkmcnt(4)                               // lgkmcnt=0 vmcnt=-1wait for prior local read local write old=0, new=4 newLW=0 newLR=0
.align32 8, 0xbf800001                             // align v_pk_fma
MAC_4x4_X0

/* iter 21 (last unrolled loop) */


/* local read a */
_ds_load_b64 v[vgprValuA_X0_I0+0:vgprValuA_X0_I0+0+1], v[vgprLocalReadAddrA] offset:2816 // L -> Reg lro=1408 swapByteOffset=0 ti=8 vIdx=0 rIdx=0 oIdx=0 buffer=0 iui=0

/* local read b */
_ds_load_b64 v[vgprValuB_X0_I0+0:vgprValuB_X0_I0+0+1], v[vgprLocalReadAddrB] offset:5632 // L -> Reg lro=2816 swapByteOffset=0 ti=16 vIdx=0 rIdx=0 oIdx=0 buffer=0 iui=0

/* local read increment a */
/* N/A, lro->1440 */
/* self.localReadDoCntA 0 self.localReadDoCntB 0 */

/* local read increment b */
/* N/A, lro->2880 */
/* self.localReadDoCntA 0 self.localReadDoCntB 0 */

/* local read a */
_ds_load_b64 v[vgprValuA_X0_I1+0:vgprValuA_X0_I1+0+1], v[vgprLocalReadAddrA] offset:2880 // L -> Reg lro=1440 swapByteOffset=0 ti=8 vIdx=0 rIdx=0 oIdx=0 buffer=0 iui=1

/* local read b */
_ds_load_b64 v[vgprValuB_X0_I1+0:vgprValuB_X0_I1+0+1], v[vgprLocalReadAddrB] offset:5760 // L -> Reg lro=2880 swapByteOffset=0 ti=16 vIdx=0 rIdx=0 oIdx=0 buffer=0 iui=1

/* local read increment a */
/* N/A, lro->1472 */
/* self.localReadDoCntA 0 self.localReadDoCntB 0 */

/* local read increment b */
/* N/A, lro->2944 */
/* self.localReadDoCntA 0 self.localReadDoCntB 0 */
s_waitcnt lgkmcnt(4)                               // lgkmcnt=0 vmcnt=-1wait for prior local read local write old=0, new=4 newLW=0 newLR=0
.align32 8, 0xbf800001                             // align v_pk_fma
MAC_4x4_X1

/* iter 22 (last unrolled loop) */


/* local read a */
_ds_load_b64 v[vgprValuA_X1_I0+0:vgprValuA_X1_I0+0+1], v[vgprLocalReadAddrA] offset:2944 // L -> Reg lro=1472 swapByteOffset=0 ti=8 vIdx=0 rIdx=0 oIdx=0 buffer=1 iui=0

/* local read b */
_ds_load_b64 v[vgprValuB_X1_I0+0:vgprValuB_X1_I0+0+1], v[vgprLocalReadAddrB] offset:5888 // L -> Reg lro=2944 swapByteOffset=0 ti=16 vIdx=0 rIdx=0 oIdx=0 buffer=1 iui=0

/* local read increment a */
/* N/A, lro->1504 */
/* self.localReadDoCntA 0 self.localReadDoCntB 0 */

/* local read increment b */
/* N/A, lro->3008 */
/* self.localReadDoCntA 0 self.localReadDoCntB 0 */

/* local read a */
_ds_load_b64 v[vgprValuA_X1_I1+0:vgprValuA_X1_I1+0+1], v[vgprLocalReadAddrA] offset:3008 // L -> Reg lro=1504 swapByteOffset=0 ti=8 vIdx=0 rIdx=0 oIdx=0 buffer=1 iui=1

/* local read b */
_ds_load_b64 v[vgprValuB_X1_I1+0:vgprValuB_X1_I1+0+1], v[vgprLocalReadAddrB] offset:6016 // L -> Reg lro=3008 swapByteOffset=0 ti=16 vIdx=0 rIdx=0 oIdx=0 buffer=1 iui=1

/* local read increment a */
/* N/A, lro->1536 */
/* self.localReadDoCntA 0 self.localReadDoCntB 0 */

/* local read increment b */
/* N/A, lro->3072 */
/* self.localReadDoCntA 0 self.localReadDoCntB 0 */
s_waitcnt lgkmcnt(4)                               // lgkmcnt=0 vmcnt=-1wait for prior local read local write old=0, new=4 newLW=0 newLR=0
.align32 8, 0xbf800001                             // align v_pk_fma
MAC_4x4_X0

/* iter 23 (last unrolled loop) */


/* local read a */
_ds_load_b64 v[vgprValuA_X0_I0+0:vgprValuA_X0_I0+0+1], v[vgprLocalReadAddrA] offset:3072 // L -> Reg lro=1536 swapByteOffset=0 ti=8 vIdx=0 rIdx=0 oIdx=0 buffer=0 iui=0

/* local read b */
_ds_load_b64 v[vgprValuB_X0_I0+0:vgprValuB_X0_I0+0+1], v[vgprLocalReadAddrB] offset:6144 // L -> Reg lro=3072 swapByteOffset=0 ti=16 vIdx=0 rIdx=0 oIdx=0 buffer=0 iui=0

/* local read increment a */
/* N/A, lro->1568 */
/* self.localReadDoCntA 0 self.localReadDoCntB 0 */

/* local read increment b */
/* N/A, lro->3136 */
/* self.localReadDoCntA 0 self.localReadDoCntB 0 */

/* local read a */
_ds_load_b64 v[vgprValuA_X0_I1+0:vgprValuA_X0_I1+0+1], v[vgprLocalReadAddrA] offset:3136 // L -> Reg lro=1568 swapByteOffset=0 ti=8 vIdx=0 rIdx=0 oIdx=0 buffer=0 iui=1

/* local read b */
_ds_load_b64 v[vgprValuB_X0_I1+0:vgprValuB_X0_I1+0+1], v[vgprLocalReadAddrB] offset:6272 // L -> Reg lro=3136 swapByteOffset=0 ti=16 vIdx=0 rIdx=0 oIdx=0 buffer=0 iui=1

/* local read increment a */
/* N/A, lro->1600 */
/* self.localReadDoCntA 0 self.localReadDoCntB 0 */

/* local read increment b */
/* N/A, lro->3200 */
/* self.localReadDoCntA 0 self.localReadDoCntB 0 */
s_waitcnt lgkmcnt(4)                               // lgkmcnt=0 vmcnt=-1wait for prior local read local write old=0, new=4 newLW=0 newLR=0
.align32 8, 0xbf800001                             // align v_pk_fma
MAC_4x4_X1

/* iter 24 (last unrolled loop) */


/* local read a */
_ds_load_b64 v[vgprValuA_X1_I0+0:vgprValuA_X1_I0+0+1], v[vgprLocalReadAddrA] offset:3200 // L -> Reg lro=1600 swapByteOffset=0 ti=8 vIdx=0 rIdx=0 oIdx=0 buffer=1 iui=0

/* local read b */
_ds_load_b64 v[vgprValuB_X1_I0+0:vgprValuB_X1_I0+0+1], v[vgprLocalReadAddrB] offset:6400 // L -> Reg lro=3200 swapByteOffset=0 ti=16 vIdx=0 rIdx=0 oIdx=0 buffer=1 iui=0

/* local read increment a */
/* N/A, lro->1632 */
/* self.localReadDoCntA 0 self.localReadDoCntB 0 */

/* local read increment b */
/* N/A, lro->3264 */
/* self.localReadDoCntA 0 self.localReadDoCntB 0 */

/* local read a */
_ds_load_b64 v[vgprValuA_X1_I1+0:vgprValuA_X1_I1+0+1], v[vgprLocalReadAddrA] offset:3264 // L -> Reg lro=1632 swapByteOffset=0 ti=8 vIdx=0 rIdx=0 oIdx=0 buffer=1 iui=1

/* local read b */
_ds_load_b64 v[vgprValuB_X1_I1+0:vgprValuB_X1_I1+0+1], v[vgprLocalReadAddrB] offset:6528 // L -> Reg lro=3264 swapByteOffset=0 ti=16 vIdx=0 rIdx=0 oIdx=0 buffer=1 iui=1

/* local read increment a */
/* N/A, lro->1664 */
/* self.localReadDoCntA 0 self.localReadDoCntB 0 */

/* local read increment b */
/* N/A, lro->3328 */
/* self.localReadDoCntA 0 self.localReadDoCntB 0 */
s_waitcnt lgkmcnt(4)                               // lgkmcnt=0 vmcnt=-1wait for prior local read local write old=0, new=4 newLW=0 newLR=0
.align32 8, 0xbf800001                             // align v_pk_fma
MAC_4x4_X0

/* iter 25 (last unrolled loop) */


/* local read a */
_ds_load_b64 v[vgprValuA_X0_I0+0:vgprValuA_X0_I0+0+1], v[vgprLocalReadAddrA] offset:3328 // L -> Reg lro=1664 swapByteOffset=0 ti=8 vIdx=0 rIdx=0 oIdx=0 buffer=0 iui=0

/* local read b */
_ds_load_b64 v[vgprValuB_X0_I0+0:vgprValuB_X0_I0+0+1], v[vgprLocalReadAddrB] offset:6656 // L -> Reg lro=3328 swapByteOffset=0 ti=16 vIdx=0 rIdx=0 oIdx=0 buffer=0 iui=0

/* local read increment a */
/* N/A, lro->1696 */
/* self.localReadDoCntA 0 self.localReadDoCntB 0 */

/* local read increment b */
/* N/A, lro->3392 */
/* self.localReadDoCntA 0 self.localReadDoCntB 0 */

/* local read a */
_ds_load_b64 v[vgprValuA_X0_I1+0:vgprValuA_X0_I1+0+1], v[vgprLocalReadAddrA] offset:3392 // L -> Reg lro=1696 swapByteOffset=0 ti=8 vIdx=0 rIdx=0 oIdx=0 buffer=0 iui=1

/* local read b */
_ds_load_b64 v[vgprValuB_X0_I1+0:vgprValuB_X0_I1+0+1], v[vgprLocalReadAddrB] offset:6784 // L -> Reg lro=3392 swapByteOffset=0 ti=16 vIdx=0 rIdx=0 oIdx=0 buffer=0 iui=1

/* local read increment a */
/* N/A, lro->1728 */
/* self.localReadDoCntA 0 self.localReadDoCntB 0 */

/* local read increment b */
/* N/A, lro->3456 */
/* self.localReadDoCntA 0 self.localReadDoCntB 0 */
s_waitcnt lgkmcnt(4)                               // lgkmcnt=0 vmcnt=-1wait for prior local read local write old=0, new=4 newLW=0 newLR=0
.align32 8, 0xbf800001                             // align v_pk_fma
MAC_4x4_X1

/* iter 26 (last unrolled loop) */


/* local read a */
_ds_load_b64 v[vgprValuA_X1_I0+0:vgprValuA_X1_I0+0+1], v[vgprLocalReadAddrA] offset:3456 // L -> Reg lro=1728 swapByteOffset=0 ti=8 vIdx=0 rIdx=0 oIdx=0 buffer=1 iui=0

/* local read b */
_ds_load_b64 v[vgprValuB_X1_I0+0:vgprValuB_X1_I0+0+1], v[vgprLocalReadAddrB] offset:6912 // L -> Reg lro=3456 swapByteOffset=0 ti=16 vIdx=0 rIdx=0 oIdx=0 buffer=1 iui=0

/* local read increment a */
/* N/A, lro->1760 */
/* self.localReadDoCntA 0 self.localReadDoCntB 0 */

/* local read increment b */
/* N/A, lro->3520 */
/* self.localReadDoCntA 0 self.localReadDoCntB 0 */

/* local read a */
_ds_load_b64 v[vgprValuA_X1_I1+0:vgprValuA_X1_I1+0+1], v[vgprLocalReadAddrA] offset:3520 // L -> Reg lro=1760 swapByteOffset=0 ti=8 vIdx=0 rIdx=0 oIdx=0 buffer=1 iui=1

/* local read b */
_ds_load_b64 v[vgprValuB_X1_I1+0:vgprValuB_X1_I1+0+1], v[vgprLocalReadAddrB] offset:7040 // L -> Reg lro=3520 swapByteOffset=0 ti=16 vIdx=0 rIdx=0 oIdx=0 buffer=1 iui=1

/* local read increment a */
/* N/A, lro->1792 */
/* self.localReadDoCntA 0 self.localReadDoCntB 0 */

/* local read increment b */
/* N/A, lro->3584 */
/* self.localReadDoCntA 0 self.localReadDoCntB 0 */
s_waitcnt lgkmcnt(4)                               // lgkmcnt=0 vmcnt=-1wait for prior local read local write old=0, new=4 newLW=0 newLR=0
.align32 8, 0xbf800001                             // align v_pk_fma
MAC_4x4_X0

/* iter 27 (last unrolled loop) */


/* local read a */
_ds_load_b64 v[vgprValuA_X0_I0+0:vgprValuA_X0_I0+0+1], v[vgprLocalReadAddrA] offset:3584 // L -> Reg lro=1792 swapByteOffset=0 ti=8 vIdx=0 rIdx=0 oIdx=0 buffer=0 iui=0

/* local read b */
_ds_load_b64 v[vgprValuB_X0_I0+0:vgprValuB_X0_I0+0+1], v[vgprLocalReadAddrB] offset:7168 // L -> Reg lro=3584 swapByteOffset=0 ti=16 vIdx=0 rIdx=0 oIdx=0 buffer=0 iui=0

/* local read increment a */
/* N/A, lro->1824 */
/* self.localReadDoCntA 0 self.localReadDoCntB 0 */

/* local read increment b */
/* N/A, lro->3648 */
/* self.localReadDoCntA 0 self.localReadDoCntB 0 */

/* local read a */
_ds_load_b64 v[vgprValuA_X0_I1+0:vgprValuA_X0_I1+0+1], v[vgprLocalReadAddrA] offset:3648 // L -> Reg lro=1824 swapByteOffset=0 ti=8 vIdx=0 rIdx=0 oIdx=0 buffer=0 iui=1

/* local read b */
_ds_load_b64 v[vgprValuB_X0_I1+0:vgprValuB_X0_I1+0+1], v[vgprLocalReadAddrB] offset:7296 // L -> Reg lro=3648 swapByteOffset=0 ti=16 vIdx=0 rIdx=0 oIdx=0 buffer=0 iui=1

/* local read increment a */
/* N/A, lro->1856 */
/* self.localReadDoCntA 0 self.localReadDoCntB 0 */

/* local read increment b */
/* N/A, lro->3712 */
/* self.localReadDoCntA 0 self.localReadDoCntB 0 */
s_waitcnt lgkmcnt(4)                               // lgkmcnt=0 vmcnt=-1wait for prior local read local write old=0, new=4 newLW=0 newLR=0
.align32 8, 0xbf800001                             // align v_pk_fma
MAC_4x4_X1

/* iter 28 (last unrolled loop) */


/* local read a */
_ds_load_b64 v[vgprValuA_X1_I0+0:vgprValuA_X1_I0+0+1], v[vgprLocalReadAddrA] offset:3712 // L -> Reg lro=1856 swapByteOffset=0 ti=8 vIdx=0 rIdx=0 oIdx=0 buffer=1 iui=0

/* local read b */
_ds_load_b64 v[vgprValuB_X1_I0+0:vgprValuB_X1_I0+0+1], v[vgprLocalReadAddrB] offset:7424 // L -> Reg lro=3712 swapByteOffset=0 ti=16 vIdx=0 rIdx=0 oIdx=0 buffer=1 iui=0

/* local read increment a */
/* N/A, lro->1888 */
/* self.localReadDoCntA 0 self.localReadDoCntB 0 */

/* local read increment b */
/* N/A, lro->3776 */
/* self.localReadDoCntA 0 self.localReadDoCntB 0 */

/* local read a */
_ds_load_b64 v[vgprValuA_X1_I1+0:vgprValuA_X1_I1+0+1], v[vgprLocalReadAddrA] offset:3776 // L -> Reg lro=1888 swapByteOffset=0 ti=8 vIdx=0 rIdx=0 oIdx=0 buffer=1 iui=1

/* local read b */
_ds_load_b64 v[vgprValuB_X1_I1+0:vgprValuB_X1_I1+0+1], v[vgprLocalReadAddrB] offset:7552 // L -> Reg lro=3776 swapByteOffset=0 ti=16 vIdx=0 rIdx=0 oIdx=0 buffer=1 iui=1

/* local read increment a */
/* N/A, lro->1920 */
/* self.localReadDoCntA 0 self.localReadDoCntB 0 */

/* local read increment b */
/* N/A, lro->3840 */
/* self.localReadDoCntA 0 self.localReadDoCntB 0 */
s_waitcnt lgkmcnt(4)                               // lgkmcnt=0 vmcnt=-1wait for prior local read local write old=0, new=4 newLW=0 newLR=0
.align32 8, 0xbf800001                             // align v_pk_fma
MAC_4x4_X0

/* iter 29 (last unrolled loop) */


/* local read a */
_ds_load_b64 v[vgprValuA_X0_I0+0:vgprValuA_X0_I0+0+1], v[vgprLocalReadAddrA] offset:3840 // L -> Reg lro=1920 swapByteOffset=0 ti=8 vIdx=0 rIdx=0 oIdx=0 buffer=0 iui=0

/* local read b */
_ds_load_b64 v[vgprValuB_X0_I0+0:vgprValuB_X0_I0+0+1], v[vgprLocalReadAddrB] offset:7680 // L -> Reg lro=3840 swapByteOffset=0 ti=16 vIdx=0 rIdx=0 oIdx=0 buffer=0 iui=0

/* local read increment a */
/* N/A, lro->1952 */
/* self.localReadDoCntA 0 self.localReadDoCntB 0 */

/* local read increment b */
/* N/A, lro->3904 */
/* self.localReadDoCntA 0 self.localReadDoCntB 0 */

/* local read a */
_ds_load_b64 v[vgprValuA_X0_I1+0:vgprValuA_X0_I1+0+1], v[vgprLocalReadAddrA] offset:3904 // L -> Reg lro=1952 swapByteOffset=0 ti=8 vIdx=0 rIdx=0 oIdx=0 buffer=0 iui=1

/* local read b */
_ds_load_b64 v[vgprValuB_X0_I1+0:vgprValuB_X0_I1+0+1], v[vgprLocalReadAddrB] offset:7808 // L -> Reg lro=3904 swapByteOffset=0 ti=16 vIdx=0 rIdx=0 oIdx=0 buffer=0 iui=1

/* local read increment a */
/* N/A, lro->1984 */
/* self.localReadDoCntA 0 self.localReadDoCntB 0 */

/* local read increment b */
/* N/A, lro->3968 */
/* self.localReadDoCntA 0 self.localReadDoCntB 0 */
s_waitcnt lgkmcnt(4)                               // lgkmcnt=0 vmcnt=-1wait for prior local read local write old=0, new=4 newLW=0 newLR=0
.align32 8, 0xbf800001                             // align v_pk_fma
MAC_4x4_X1

/* iter 30 (last unrolled loop) */


/* local read a */
_ds_load_b64 v[vgprValuA_X1_I0+0:vgprValuA_X1_I0+0+1], v[vgprLocalReadAddrA] offset:3968 // L -> Reg lro=1984 swapByteOffset=0 ti=8 vIdx=0 rIdx=0 oIdx=0 buffer=1 iui=0

/* local read b */
_ds_load_b64 v[vgprValuB_X1_I0+0:vgprValuB_X1_I0+0+1], v[vgprLocalReadAddrB] offset:7936 // L -> Reg lro=3968 swapByteOffset=0 ti=16 vIdx=0 rIdx=0 oIdx=0 buffer=1 iui=0

/* local read increment a */
/* N/A, lro->2016 */
/* self.localReadDoCntA 0 self.localReadDoCntB 0 */

/* local read increment b */
/* N/A, lro->4032 */
/* self.localReadDoCntA 0 self.localReadDoCntB 0 */

/* local read a */
_ds_load_b64 v[vgprValuA_X1_I1+0:vgprValuA_X1_I1+0+1], v[vgprLocalReadAddrA] offset:4032 // L -> Reg lro=2016 swapByteOffset=0 ti=8 vIdx=0 rIdx=0 oIdx=0 buffer=1 iui=1

/* local read b */
_ds_load_b64 v[vgprValuB_X1_I1+0:vgprValuB_X1_I1+0+1], v[vgprLocalReadAddrB] offset:8064 // L -> Reg lro=4032 swapByteOffset=0 ti=16 vIdx=0 rIdx=0 oIdx=0 buffer=1 iui=1
s_waitcnt lgkmcnt(4)                               // lgkmcnt=0 vmcnt=-1wait for prior local read local write old=0, new=4 newLW=0 newLR=0
.align32 8, 0xbf800001                             // align v_pk_fma
MAC_4x4_X0

/* iter 31 (last unrolled loop) */

s_waitcnt lgkmcnt(0)                               // lgkmcnt=0 vmcnt=-1wait for prior local read local write old=0, new=0 newLW=0 newLR=0
.align32 8, 0xbf800001                             // align v_pk_fma
MAC_4x4_X1
/* Stores for OptNLL */
Summation_End_OptNLL_18:
/* endSummation: add vgpr [16...70) to pool */
/* computeStoreVgprs */
v_lshrrev_b32 v17, 3, v[vgprSerial]                // v17 = v[vgprSerial] / 8
v_and_b32 v16, 7, v[vgprSerial]                    // v16 = v[vgprSerial] % 8
v_lshlrev_b32 v16, 0x2, v16                        // v16 = v16 * 4
v_lshlrev_b32 v17, 0x2, v17                        // v17 = v17 * 4
v_mul_lo_u32 v18, v17, s[sgprStrideC1J]            // rowStart vgpr
v_mul_lo_u32 v19, v17, s[sgprStrideD1J]            // rowStart vgpr

s_mul_i32 s38, 0x20, s[sgprWorkGroup0]             // s38 = wg0*MT0
_v_add_co_u32 v16, vcc, s38, v16                   // coord0 = tid0*VW + wg0*MT0
s_mul_i32 s40, 0x40, s[sgprWorkGroup1]             // <- wg1*MT1
_v_add_co_u32 v17, vcc, s40, v17                   // coord1 = tid1*VW + wg1*MT1
GW_B0_E0_21:

/* edge=0, allocate 2 sgpr. perBatchTmpS=2 perBatchMaskS=0 perElementMaskS=0 elementsPerBatch=4 */
/* optSingleColVgpr=1 optSharedColVgpr=0 optSGPRUsage=BufferLoad_Mask optSrdIncForRow=1 */

/******************************************/
/* Global Write Batch #0 (d1,d0,vc1,vc0) = */
/*    (0,0,0,0:vw4); (0,0,1,0:vw4); (0,0,2,0:vw4); (0,0,3,0:vw4) */
/******************************************/

/* calc coords, apply mask, and issue loads (if necessary) */
/* (d1,vc1,d0,vc0)=(0,0,0,0) */
/* (d1,vc1,d0,vc0)=(0,1,0,0) */
	;; [unrolled: 1-line block ×4, first 2 shown]
_v_add_lshl_u32 v22, v19, v16, 0x1                 // optSingleColVgpr scaleToBpe: sharedAddrVgpr <- cinRowPtr + coord0, scaled by BPE. BSHERE:coord0=16, coord0Vgpr=16

/* apply mask, calc new C and issue writes */
v_cvt_f16_f32 v[vgprValuC+0], v[vgprValuC+0]       // convert C to fp16
v_cvt_f16_f32 v[vgprValuC+1], v[vgprValuC+1]       // convert C to fp16
v_pack_b32_f16 v0, v[vgprValuC+0], v[vgprValuC+1]  // Pack with neighbor
v_cvt_f16_f32 v[vgprValuC+2], v[vgprValuC+2]       // convert C to fp16
v_cvt_f16_f32 v[vgprValuC+3], v[vgprValuC+3]       // convert C to fp16
v_pack_b32_f16 v1, v[vgprValuC+2], v[vgprValuC+3]  // Pack with neighbor
_buffer_store_b64 v[0:1], v22, s[sgprSrdD:sgprSrdD+3], 0, offen, offset:0 // store D
v_cvt_f16_f32 v[vgprValuC+4], v[vgprValuC+4]       // convert C to fp16
v_cvt_f16_f32 v[vgprValuC+5], v[vgprValuC+5]       // convert C to fp16
v_pack_b32_f16 v4, v[vgprValuC+4], v[vgprValuC+5]  // Pack with neighbor
v_cvt_f16_f32 v[vgprValuC+6], v[vgprValuC+6]       // convert C to fp16
v_cvt_f16_f32 v[vgprValuC+7], v[vgprValuC+7]       // convert C to fp16
v_pack_b32_f16 v5, v[vgprValuC+6], v[vgprValuC+7]  // Pack with neighbor
s_lshl_b32  s38, s[sgprStrideD1J], 1               // incToNextRow: Scale by BPE
s_add_u32  s[sgprSrdD+0], s[sgprSrdD+0], s38       // incToNextRow: gra SRD += inc(lower)
s_addc_u32  s[sgprSrdD+1], s[sgprSrdD+1], 0        // incToNextRow: gra SRD += inc(upper)
_buffer_store_b64 v[4:5], v22, s[sgprSrdD:sgprSrdD+3], 0, offen, offset:0 // store D
v_cvt_f16_f32 v[vgprValuC+8], v[vgprValuC+8]       // convert C to fp16
v_cvt_f16_f32 v[vgprValuC+9], v[vgprValuC+9]       // convert C to fp16
v_pack_b32_f16 v8, v[vgprValuC+8], v[vgprValuC+9]  // Pack with neighbor
v_cvt_f16_f32 v[vgprValuC+10], v[vgprValuC+10]     // convert C to fp16
v_cvt_f16_f32 v[vgprValuC+11], v[vgprValuC+11]     // convert C to fp16
v_pack_b32_f16 v9, v[vgprValuC+10], v[vgprValuC+11] // Pack with neighbor
s_lshl_b32  s38, s[sgprStrideD1J], 1               // incToNextRow: Scale by BPE
s_add_u32  s[sgprSrdD+0], s[sgprSrdD+0], s38       // incToNextRow: gra SRD += inc(lower)
s_addc_u32  s[sgprSrdD+1], s[sgprSrdD+1], 0        // incToNextRow: gra SRD += inc(upper)
_buffer_store_b64 v[8:9], v22, s[sgprSrdD:sgprSrdD+3], 0, offen, offset:0 // store D
v_cvt_f16_f32 v[vgprValuC+12], v[vgprValuC+12]     // convert C to fp16
v_cvt_f16_f32 v[vgprValuC+13], v[vgprValuC+13]     // convert C to fp16
v_pack_b32_f16 v12, v[vgprValuC+12], v[vgprValuC+13] // Pack with neighbor
v_cvt_f16_f32 v[vgprValuC+14], v[vgprValuC+14]     // convert C to fp16
v_cvt_f16_f32 v[vgprValuC+15], v[vgprValuC+15]     // convert C to fp16
v_pack_b32_f16 v13, v[vgprValuC+14], v[vgprValuC+15] // Pack with neighbor
s_lshl_b32  s38, s[sgprStrideD1J], 1               // incToNextRow: Scale by BPE
s_add_u32  s[sgprSrdD+0], s[sgprSrdD+0], s38       // incToNextRow: gra SRD += inc(lower)
s_addc_u32  s[sgprSrdD+1], s[sgprSrdD+1], 0        // incToNextRow: gra SRD += inc(upper)
_buffer_store_b64 v[12:13], v22, s[sgprSrdD:sgprSrdD+3], 0, offen, offset:0 // store D
s_branch label_GW_End_23                           // jump to end
label_GW_End_23:

s_endpgm                                           // Kernel End
OptNLL_End_17:


/******************************************/
/* Ord. NoLoadLoop - Begin                                      */
/******************************************/


	;; [unrolled: 1-line block ×4, first 2 shown]
/* iter 0 (last unrolled loop) */


/* local read a */
_ds_load_b64 v[vgprValuA_X1_I0+0:vgprValuA_X1_I0+0+1], v[vgprLocalReadAddrA] offset:128 // L -> Reg lro=64 swapByteOffset=0 ti=8 vIdx=0 rIdx=0 oIdx=0 buffer=1 iui=0

/* local read b */
_ds_load_b64 v[vgprValuB_X1_I0+0:vgprValuB_X1_I0+0+1], v[vgprLocalReadAddrB] offset:256 // L -> Reg lro=128 swapByteOffset=0 ti=16 vIdx=0 rIdx=0 oIdx=0 buffer=1 iui=0

/* local read increment a */
/* N/A, lro->96 */
/* self.localReadDoCntA 0 self.localReadDoCntB 0 */

/* local read increment b */
/* N/A, lro->192 */
/* self.localReadDoCntA 0 self.localReadDoCntB 0 */

/* local read a */
_ds_load_b64 v[vgprValuA_X1_I1+0:vgprValuA_X1_I1+0+1], v[vgprLocalReadAddrA] offset:192 // L -> Reg lro=96 swapByteOffset=0 ti=8 vIdx=0 rIdx=0 oIdx=0 buffer=1 iui=1

/* local read b */
_ds_load_b64 v[vgprValuB_X1_I1+0:vgprValuB_X1_I1+0+1], v[vgprLocalReadAddrB] offset:384 // L -> Reg lro=192 swapByteOffset=0 ti=16 vIdx=0 rIdx=0 oIdx=0 buffer=1 iui=1

/* local read increment a */
/* N/A, lro->128 */
/* self.localReadDoCntA 0 self.localReadDoCntB 0 */

/* local read increment b */
/* N/A, lro->256 */
/* self.localReadDoCntA 0 self.localReadDoCntB 0 */
s_waitcnt lgkmcnt(4)                               // lgkmcnt=0 vmcnt=-1wait for prior local read local write old=0, new=4 newLW=0 newLR=0
.align32 8, 0xbf800001                             // align v_pk_fma
MAC_4x4_X0

/* iter 1 (last unrolled loop) */


/* local read a */
_ds_load_b64 v[vgprValuA_X0_I0+0:vgprValuA_X0_I0+0+1], v[vgprLocalReadAddrA] offset:256 // L -> Reg lro=128 swapByteOffset=0 ti=8 vIdx=0 rIdx=0 oIdx=0 buffer=0 iui=0

/* local read b */
_ds_load_b64 v[vgprValuB_X0_I0+0:vgprValuB_X0_I0+0+1], v[vgprLocalReadAddrB] offset:512 // L -> Reg lro=256 swapByteOffset=0 ti=16 vIdx=0 rIdx=0 oIdx=0 buffer=0 iui=0

/* local read increment a */
/* N/A, lro->160 */
/* self.localReadDoCntA 0 self.localReadDoCntB 0 */

/* local read increment b */
/* N/A, lro->320 */
/* self.localReadDoCntA 0 self.localReadDoCntB 0 */

/* local read a */
_ds_load_b64 v[vgprValuA_X0_I1+0:vgprValuA_X0_I1+0+1], v[vgprLocalReadAddrA] offset:320 // L -> Reg lro=160 swapByteOffset=0 ti=8 vIdx=0 rIdx=0 oIdx=0 buffer=0 iui=1

/* local read b */
_ds_load_b64 v[vgprValuB_X0_I1+0:vgprValuB_X0_I1+0+1], v[vgprLocalReadAddrB] offset:640 // L -> Reg lro=320 swapByteOffset=0 ti=16 vIdx=0 rIdx=0 oIdx=0 buffer=0 iui=1

/* local read increment a */
/* N/A, lro->192 */
/* self.localReadDoCntA 0 self.localReadDoCntB 0 */

/* local read increment b */
/* N/A, lro->384 */
/* self.localReadDoCntA 0 self.localReadDoCntB 0 */
s_waitcnt lgkmcnt(4)                               // lgkmcnt=0 vmcnt=-1wait for prior local read local write old=0, new=4 newLW=0 newLR=0
.align32 8, 0xbf800001                             // align v_pk_fma
MAC_4x4_X1

/* iter 2 (last unrolled loop) */


/* local read a */
_ds_load_b64 v[vgprValuA_X1_I0+0:vgprValuA_X1_I0+0+1], v[vgprLocalReadAddrA] offset:384 // L -> Reg lro=192 swapByteOffset=0 ti=8 vIdx=0 rIdx=0 oIdx=0 buffer=1 iui=0

/* local read b */
_ds_load_b64 v[vgprValuB_X1_I0+0:vgprValuB_X1_I0+0+1], v[vgprLocalReadAddrB] offset:768 // L -> Reg lro=384 swapByteOffset=0 ti=16 vIdx=0 rIdx=0 oIdx=0 buffer=1 iui=0

/* local read increment a */
/* N/A, lro->224 */
/* self.localReadDoCntA 0 self.localReadDoCntB 0 */

/* local read increment b */
/* N/A, lro->448 */
/* self.localReadDoCntA 0 self.localReadDoCntB 0 */

/* local read a */
_ds_load_b64 v[vgprValuA_X1_I1+0:vgprValuA_X1_I1+0+1], v[vgprLocalReadAddrA] offset:448 // L -> Reg lro=224 swapByteOffset=0 ti=8 vIdx=0 rIdx=0 oIdx=0 buffer=1 iui=1

/* local read b */
_ds_load_b64 v[vgprValuB_X1_I1+0:vgprValuB_X1_I1+0+1], v[vgprLocalReadAddrB] offset:896 // L -> Reg lro=448 swapByteOffset=0 ti=16 vIdx=0 rIdx=0 oIdx=0 buffer=1 iui=1

/* local read increment a */
/* N/A, lro->256 */
/* self.localReadDoCntA 0 self.localReadDoCntB 0 */

/* local read increment b */
/* N/A, lro->512 */
/* self.localReadDoCntA 0 self.localReadDoCntB 0 */
s_waitcnt lgkmcnt(4)                               // lgkmcnt=0 vmcnt=-1wait for prior local read local write old=0, new=4 newLW=0 newLR=0
.align32 8, 0xbf800001                             // align v_pk_fma
MAC_4x4_X0

/* iter 3 (last unrolled loop) */


/* local read a */
_ds_load_b64 v[vgprValuA_X0_I0+0:vgprValuA_X0_I0+0+1], v[vgprLocalReadAddrA] offset:512 // L -> Reg lro=256 swapByteOffset=0 ti=8 vIdx=0 rIdx=0 oIdx=0 buffer=0 iui=0

/* local read b */
_ds_load_b64 v[vgprValuB_X0_I0+0:vgprValuB_X0_I0+0+1], v[vgprLocalReadAddrB] offset:1024 // L -> Reg lro=512 swapByteOffset=0 ti=16 vIdx=0 rIdx=0 oIdx=0 buffer=0 iui=0

/* local read increment a */
/* N/A, lro->288 */
/* self.localReadDoCntA 0 self.localReadDoCntB 0 */

/* local read increment b */
/* N/A, lro->576 */
/* self.localReadDoCntA 0 self.localReadDoCntB 0 */

/* local read a */
_ds_load_b64 v[vgprValuA_X0_I1+0:vgprValuA_X0_I1+0+1], v[vgprLocalReadAddrA] offset:576 // L -> Reg lro=288 swapByteOffset=0 ti=8 vIdx=0 rIdx=0 oIdx=0 buffer=0 iui=1

/* local read b */
_ds_load_b64 v[vgprValuB_X0_I1+0:vgprValuB_X0_I1+0+1], v[vgprLocalReadAddrB] offset:1152 // L -> Reg lro=576 swapByteOffset=0 ti=16 vIdx=0 rIdx=0 oIdx=0 buffer=0 iui=1

/* local read increment a */
/* N/A, lro->320 */
/* self.localReadDoCntA 0 self.localReadDoCntB 0 */

/* local read increment b */
/* N/A, lro->640 */
/* self.localReadDoCntA 0 self.localReadDoCntB 0 */
s_waitcnt lgkmcnt(4)                               // lgkmcnt=0 vmcnt=-1wait for prior local read local write old=0, new=4 newLW=0 newLR=0
.align32 8, 0xbf800001                             // align v_pk_fma
MAC_4x4_X1

/* iter 4 (last unrolled loop) */


/* local read a */
_ds_load_b64 v[vgprValuA_X1_I0+0:vgprValuA_X1_I0+0+1], v[vgprLocalReadAddrA] offset:640 // L -> Reg lro=320 swapByteOffset=0 ti=8 vIdx=0 rIdx=0 oIdx=0 buffer=1 iui=0

/* local read b */
_ds_load_b64 v[vgprValuB_X1_I0+0:vgprValuB_X1_I0+0+1], v[vgprLocalReadAddrB] offset:1280 // L -> Reg lro=640 swapByteOffset=0 ti=16 vIdx=0 rIdx=0 oIdx=0 buffer=1 iui=0

/* local read increment a */
/* N/A, lro->352 */
/* self.localReadDoCntA 0 self.localReadDoCntB 0 */

/* local read increment b */
/* N/A, lro->704 */
/* self.localReadDoCntA 0 self.localReadDoCntB 0 */

/* local read a */
_ds_load_b64 v[vgprValuA_X1_I1+0:vgprValuA_X1_I1+0+1], v[vgprLocalReadAddrA] offset:704 // L -> Reg lro=352 swapByteOffset=0 ti=8 vIdx=0 rIdx=0 oIdx=0 buffer=1 iui=1

/* local read b */
_ds_load_b64 v[vgprValuB_X1_I1+0:vgprValuB_X1_I1+0+1], v[vgprLocalReadAddrB] offset:1408 // L -> Reg lro=704 swapByteOffset=0 ti=16 vIdx=0 rIdx=0 oIdx=0 buffer=1 iui=1

/* local read increment a */
/* N/A, lro->384 */
/* self.localReadDoCntA 0 self.localReadDoCntB 0 */

/* local read increment b */
/* N/A, lro->768 */
/* self.localReadDoCntA 0 self.localReadDoCntB 0 */
s_waitcnt lgkmcnt(4)                               // lgkmcnt=0 vmcnt=-1wait for prior local read local write old=0, new=4 newLW=0 newLR=0
.align32 8, 0xbf800001                             // align v_pk_fma
MAC_4x4_X0

/* iter 5 (last unrolled loop) */


/* local read a */
_ds_load_b64 v[vgprValuA_X0_I0+0:vgprValuA_X0_I0+0+1], v[vgprLocalReadAddrA] offset:768 // L -> Reg lro=384 swapByteOffset=0 ti=8 vIdx=0 rIdx=0 oIdx=0 buffer=0 iui=0

/* local read b */
_ds_load_b64 v[vgprValuB_X0_I0+0:vgprValuB_X0_I0+0+1], v[vgprLocalReadAddrB] offset:1536 // L -> Reg lro=768 swapByteOffset=0 ti=16 vIdx=0 rIdx=0 oIdx=0 buffer=0 iui=0

/* local read increment a */
/* N/A, lro->416 */
/* self.localReadDoCntA 0 self.localReadDoCntB 0 */

/* local read increment b */
/* N/A, lro->832 */
/* self.localReadDoCntA 0 self.localReadDoCntB 0 */

/* local read a */
_ds_load_b64 v[vgprValuA_X0_I1+0:vgprValuA_X0_I1+0+1], v[vgprLocalReadAddrA] offset:832 // L -> Reg lro=416 swapByteOffset=0 ti=8 vIdx=0 rIdx=0 oIdx=0 buffer=0 iui=1

/* local read b */
_ds_load_b64 v[vgprValuB_X0_I1+0:vgprValuB_X0_I1+0+1], v[vgprLocalReadAddrB] offset:1664 // L -> Reg lro=832 swapByteOffset=0 ti=16 vIdx=0 rIdx=0 oIdx=0 buffer=0 iui=1

/* local read increment a */
/* N/A, lro->448 */
/* self.localReadDoCntA 0 self.localReadDoCntB 0 */

/* local read increment b */
/* N/A, lro->896 */
/* self.localReadDoCntA 0 self.localReadDoCntB 0 */
s_waitcnt lgkmcnt(4)                               // lgkmcnt=0 vmcnt=-1wait for prior local read local write old=0, new=4 newLW=0 newLR=0
.align32 8, 0xbf800001                             // align v_pk_fma
MAC_4x4_X1

/* iter 6 (last unrolled loop) */


/* local read a */
_ds_load_b64 v[vgprValuA_X1_I0+0:vgprValuA_X1_I0+0+1], v[vgprLocalReadAddrA] offset:896 // L -> Reg lro=448 swapByteOffset=0 ti=8 vIdx=0 rIdx=0 oIdx=0 buffer=1 iui=0

/* local read b */
_ds_load_b64 v[vgprValuB_X1_I0+0:vgprValuB_X1_I0+0+1], v[vgprLocalReadAddrB] offset:1792 // L -> Reg lro=896 swapByteOffset=0 ti=16 vIdx=0 rIdx=0 oIdx=0 buffer=1 iui=0

/* local read increment a */
/* N/A, lro->480 */
/* self.localReadDoCntA 0 self.localReadDoCntB 0 */

/* local read increment b */
/* N/A, lro->960 */
/* self.localReadDoCntA 0 self.localReadDoCntB 0 */

/* local read a */
_ds_load_b64 v[vgprValuA_X1_I1+0:vgprValuA_X1_I1+0+1], v[vgprLocalReadAddrA] offset:960 // L -> Reg lro=480 swapByteOffset=0 ti=8 vIdx=0 rIdx=0 oIdx=0 buffer=1 iui=1

/* local read b */
_ds_load_b64 v[vgprValuB_X1_I1+0:vgprValuB_X1_I1+0+1], v[vgprLocalReadAddrB] offset:1920 // L -> Reg lro=960 swapByteOffset=0 ti=16 vIdx=0 rIdx=0 oIdx=0 buffer=1 iui=1

/* local read increment a */
/* N/A, lro->512 */
/* self.localReadDoCntA 0 self.localReadDoCntB 0 */

/* local read increment b */
/* N/A, lro->1024 */
/* self.localReadDoCntA 0 self.localReadDoCntB 0 */
s_waitcnt lgkmcnt(4)                               // lgkmcnt=0 vmcnt=-1wait for prior local read local write old=0, new=4 newLW=0 newLR=0
.align32 8, 0xbf800001                             // align v_pk_fma
MAC_4x4_X0

/* iter 7 (last unrolled loop) */


/* local read a */
_ds_load_b64 v[vgprValuA_X0_I0+0:vgprValuA_X0_I0+0+1], v[vgprLocalReadAddrA] offset:1024 // L -> Reg lro=512 swapByteOffset=0 ti=8 vIdx=0 rIdx=0 oIdx=0 buffer=0 iui=0

/* local read b */
_ds_load_b64 v[vgprValuB_X0_I0+0:vgprValuB_X0_I0+0+1], v[vgprLocalReadAddrB] offset:2048 // L -> Reg lro=1024 swapByteOffset=0 ti=16 vIdx=0 rIdx=0 oIdx=0 buffer=0 iui=0

/* local read increment a */
/* N/A, lro->544 */
/* self.localReadDoCntA 0 self.localReadDoCntB 0 */

/* local read increment b */
/* N/A, lro->1088 */
/* self.localReadDoCntA 0 self.localReadDoCntB 0 */

/* local read a */
_ds_load_b64 v[vgprValuA_X0_I1+0:vgprValuA_X0_I1+0+1], v[vgprLocalReadAddrA] offset:1088 // L -> Reg lro=544 swapByteOffset=0 ti=8 vIdx=0 rIdx=0 oIdx=0 buffer=0 iui=1

/* local read b */
_ds_load_b64 v[vgprValuB_X0_I1+0:vgprValuB_X0_I1+0+1], v[vgprLocalReadAddrB] offset:2176 // L -> Reg lro=1088 swapByteOffset=0 ti=16 vIdx=0 rIdx=0 oIdx=0 buffer=0 iui=1

/* local read increment a */
/* N/A, lro->576 */
/* self.localReadDoCntA 0 self.localReadDoCntB 0 */

/* local read increment b */
/* N/A, lro->1152 */
/* self.localReadDoCntA 0 self.localReadDoCntB 0 */
s_waitcnt lgkmcnt(4)                               // lgkmcnt=0 vmcnt=-1wait for prior local read local write old=0, new=4 newLW=0 newLR=0
.align32 8, 0xbf800001                             // align v_pk_fma
MAC_4x4_X1

/* iter 8 (last unrolled loop) */


/* local read a */
_ds_load_b64 v[vgprValuA_X1_I0+0:vgprValuA_X1_I0+0+1], v[vgprLocalReadAddrA] offset:1152 // L -> Reg lro=576 swapByteOffset=0 ti=8 vIdx=0 rIdx=0 oIdx=0 buffer=1 iui=0

/* local read b */
_ds_load_b64 v[vgprValuB_X1_I0+0:vgprValuB_X1_I0+0+1], v[vgprLocalReadAddrB] offset:2304 // L -> Reg lro=1152 swapByteOffset=0 ti=16 vIdx=0 rIdx=0 oIdx=0 buffer=1 iui=0

/* local read increment a */
/* N/A, lro->608 */
/* self.localReadDoCntA 0 self.localReadDoCntB 0 */

/* local read increment b */
/* N/A, lro->1216 */
/* self.localReadDoCntA 0 self.localReadDoCntB 0 */

/* local read a */
_ds_load_b64 v[vgprValuA_X1_I1+0:vgprValuA_X1_I1+0+1], v[vgprLocalReadAddrA] offset:1216 // L -> Reg lro=608 swapByteOffset=0 ti=8 vIdx=0 rIdx=0 oIdx=0 buffer=1 iui=1

/* local read b */
_ds_load_b64 v[vgprValuB_X1_I1+0:vgprValuB_X1_I1+0+1], v[vgprLocalReadAddrB] offset:2432 // L -> Reg lro=1216 swapByteOffset=0 ti=16 vIdx=0 rIdx=0 oIdx=0 buffer=1 iui=1

/* local read increment a */
/* N/A, lro->640 */
/* self.localReadDoCntA 0 self.localReadDoCntB 0 */

/* local read increment b */
/* N/A, lro->1280 */
/* self.localReadDoCntA 0 self.localReadDoCntB 0 */
s_waitcnt lgkmcnt(4)                               // lgkmcnt=0 vmcnt=-1wait for prior local read local write old=0, new=4 newLW=0 newLR=0
.align32 8, 0xbf800001                             // align v_pk_fma
MAC_4x4_X0

/* iter 9 (last unrolled loop) */


/* local read a */
_ds_load_b64 v[vgprValuA_X0_I0+0:vgprValuA_X0_I0+0+1], v[vgprLocalReadAddrA] offset:1280 // L -> Reg lro=640 swapByteOffset=0 ti=8 vIdx=0 rIdx=0 oIdx=0 buffer=0 iui=0

/* local read b */
_ds_load_b64 v[vgprValuB_X0_I0+0:vgprValuB_X0_I0+0+1], v[vgprLocalReadAddrB] offset:2560 // L -> Reg lro=1280 swapByteOffset=0 ti=16 vIdx=0 rIdx=0 oIdx=0 buffer=0 iui=0

/* local read increment a */
/* N/A, lro->672 */
/* self.localReadDoCntA 0 self.localReadDoCntB 0 */

/* local read increment b */
/* N/A, lro->1344 */
/* self.localReadDoCntA 0 self.localReadDoCntB 0 */

/* local read a */
_ds_load_b64 v[vgprValuA_X0_I1+0:vgprValuA_X0_I1+0+1], v[vgprLocalReadAddrA] offset:1344 // L -> Reg lro=672 swapByteOffset=0 ti=8 vIdx=0 rIdx=0 oIdx=0 buffer=0 iui=1

/* local read b */
_ds_load_b64 v[vgprValuB_X0_I1+0:vgprValuB_X0_I1+0+1], v[vgprLocalReadAddrB] offset:2688 // L -> Reg lro=1344 swapByteOffset=0 ti=16 vIdx=0 rIdx=0 oIdx=0 buffer=0 iui=1

/* local read increment a */
/* N/A, lro->704 */
/* self.localReadDoCntA 0 self.localReadDoCntB 0 */

/* local read increment b */
/* N/A, lro->1408 */
/* self.localReadDoCntA 0 self.localReadDoCntB 0 */
s_waitcnt lgkmcnt(4)                               // lgkmcnt=0 vmcnt=-1wait for prior local read local write old=0, new=4 newLW=0 newLR=0
.align32 8, 0xbf800001                             // align v_pk_fma
MAC_4x4_X1

/* iter 10 (last unrolled loop) */


/* local read a */
_ds_load_b64 v[vgprValuA_X1_I0+0:vgprValuA_X1_I0+0+1], v[vgprLocalReadAddrA] offset:1408 // L -> Reg lro=704 swapByteOffset=0 ti=8 vIdx=0 rIdx=0 oIdx=0 buffer=1 iui=0

/* local read b */
_ds_load_b64 v[vgprValuB_X1_I0+0:vgprValuB_X1_I0+0+1], v[vgprLocalReadAddrB] offset:2816 // L -> Reg lro=1408 swapByteOffset=0 ti=16 vIdx=0 rIdx=0 oIdx=0 buffer=1 iui=0

/* local read increment a */
/* N/A, lro->736 */
/* self.localReadDoCntA 0 self.localReadDoCntB 0 */

/* local read increment b */
/* N/A, lro->1472 */
/* self.localReadDoCntA 0 self.localReadDoCntB 0 */

/* local read a */
_ds_load_b64 v[vgprValuA_X1_I1+0:vgprValuA_X1_I1+0+1], v[vgprLocalReadAddrA] offset:1472 // L -> Reg lro=736 swapByteOffset=0 ti=8 vIdx=0 rIdx=0 oIdx=0 buffer=1 iui=1

/* local read b */
_ds_load_b64 v[vgprValuB_X1_I1+0:vgprValuB_X1_I1+0+1], v[vgprLocalReadAddrB] offset:2944 // L -> Reg lro=1472 swapByteOffset=0 ti=16 vIdx=0 rIdx=0 oIdx=0 buffer=1 iui=1

/* local read increment a */
/* N/A, lro->768 */
/* self.localReadDoCntA 0 self.localReadDoCntB 0 */

/* local read increment b */
/* N/A, lro->1536 */
/* self.localReadDoCntA 0 self.localReadDoCntB 0 */
s_waitcnt lgkmcnt(4)                               // lgkmcnt=0 vmcnt=-1wait for prior local read local write old=0, new=4 newLW=0 newLR=0
.align32 8, 0xbf800001                             // align v_pk_fma
MAC_4x4_X0

/* iter 11 (last unrolled loop) */


/* local read a */
_ds_load_b64 v[vgprValuA_X0_I0+0:vgprValuA_X0_I0+0+1], v[vgprLocalReadAddrA] offset:1536 // L -> Reg lro=768 swapByteOffset=0 ti=8 vIdx=0 rIdx=0 oIdx=0 buffer=0 iui=0

/* local read b */
_ds_load_b64 v[vgprValuB_X0_I0+0:vgprValuB_X0_I0+0+1], v[vgprLocalReadAddrB] offset:3072 // L -> Reg lro=1536 swapByteOffset=0 ti=16 vIdx=0 rIdx=0 oIdx=0 buffer=0 iui=0

/* local read increment a */
/* N/A, lro->800 */
/* self.localReadDoCntA 0 self.localReadDoCntB 0 */

/* local read increment b */
/* N/A, lro->1600 */
/* self.localReadDoCntA 0 self.localReadDoCntB 0 */

/* local read a */
_ds_load_b64 v[vgprValuA_X0_I1+0:vgprValuA_X0_I1+0+1], v[vgprLocalReadAddrA] offset:1600 // L -> Reg lro=800 swapByteOffset=0 ti=8 vIdx=0 rIdx=0 oIdx=0 buffer=0 iui=1

/* local read b */
_ds_load_b64 v[vgprValuB_X0_I1+0:vgprValuB_X0_I1+0+1], v[vgprLocalReadAddrB] offset:3200 // L -> Reg lro=1600 swapByteOffset=0 ti=16 vIdx=0 rIdx=0 oIdx=0 buffer=0 iui=1

/* local read increment a */
/* N/A, lro->832 */
/* self.localReadDoCntA 0 self.localReadDoCntB 0 */

/* local read increment b */
/* N/A, lro->1664 */
/* self.localReadDoCntA 0 self.localReadDoCntB 0 */
s_waitcnt lgkmcnt(4)                               // lgkmcnt=0 vmcnt=-1wait for prior local read local write old=0, new=4 newLW=0 newLR=0
.align32 8, 0xbf800001                             // align v_pk_fma
MAC_4x4_X1

/* iter 12 (last unrolled loop) */


/* local read a */
_ds_load_b64 v[vgprValuA_X1_I0+0:vgprValuA_X1_I0+0+1], v[vgprLocalReadAddrA] offset:1664 // L -> Reg lro=832 swapByteOffset=0 ti=8 vIdx=0 rIdx=0 oIdx=0 buffer=1 iui=0

/* local read b */
_ds_load_b64 v[vgprValuB_X1_I0+0:vgprValuB_X1_I0+0+1], v[vgprLocalReadAddrB] offset:3328 // L -> Reg lro=1664 swapByteOffset=0 ti=16 vIdx=0 rIdx=0 oIdx=0 buffer=1 iui=0

/* local read increment a */
/* N/A, lro->864 */
/* self.localReadDoCntA 0 self.localReadDoCntB 0 */

/* local read increment b */
/* N/A, lro->1728 */
/* self.localReadDoCntA 0 self.localReadDoCntB 0 */

/* local read a */
_ds_load_b64 v[vgprValuA_X1_I1+0:vgprValuA_X1_I1+0+1], v[vgprLocalReadAddrA] offset:1728 // L -> Reg lro=864 swapByteOffset=0 ti=8 vIdx=0 rIdx=0 oIdx=0 buffer=1 iui=1

/* local read b */
_ds_load_b64 v[vgprValuB_X1_I1+0:vgprValuB_X1_I1+0+1], v[vgprLocalReadAddrB] offset:3456 // L -> Reg lro=1728 swapByteOffset=0 ti=16 vIdx=0 rIdx=0 oIdx=0 buffer=1 iui=1

/* local read increment a */
/* N/A, lro->896 */
/* self.localReadDoCntA 0 self.localReadDoCntB 0 */

/* local read increment b */
/* N/A, lro->1792 */
/* self.localReadDoCntA 0 self.localReadDoCntB 0 */
s_waitcnt lgkmcnt(4)                               // lgkmcnt=0 vmcnt=-1wait for prior local read local write old=0, new=4 newLW=0 newLR=0
.align32 8, 0xbf800001                             // align v_pk_fma
MAC_4x4_X0

/* iter 13 (last unrolled loop) */


/* local read a */
_ds_load_b64 v[vgprValuA_X0_I0+0:vgprValuA_X0_I0+0+1], v[vgprLocalReadAddrA] offset:1792 // L -> Reg lro=896 swapByteOffset=0 ti=8 vIdx=0 rIdx=0 oIdx=0 buffer=0 iui=0

/* local read b */
_ds_load_b64 v[vgprValuB_X0_I0+0:vgprValuB_X0_I0+0+1], v[vgprLocalReadAddrB] offset:3584 // L -> Reg lro=1792 swapByteOffset=0 ti=16 vIdx=0 rIdx=0 oIdx=0 buffer=0 iui=0

/* local read increment a */
/* N/A, lro->928 */
/* self.localReadDoCntA 0 self.localReadDoCntB 0 */

/* local read increment b */
/* N/A, lro->1856 */
/* self.localReadDoCntA 0 self.localReadDoCntB 0 */

/* local read a */
_ds_load_b64 v[vgprValuA_X0_I1+0:vgprValuA_X0_I1+0+1], v[vgprLocalReadAddrA] offset:1856 // L -> Reg lro=928 swapByteOffset=0 ti=8 vIdx=0 rIdx=0 oIdx=0 buffer=0 iui=1

/* local read b */
_ds_load_b64 v[vgprValuB_X0_I1+0:vgprValuB_X0_I1+0+1], v[vgprLocalReadAddrB] offset:3712 // L -> Reg lro=1856 swapByteOffset=0 ti=16 vIdx=0 rIdx=0 oIdx=0 buffer=0 iui=1

/* local read increment a */
/* N/A, lro->960 */
/* self.localReadDoCntA 0 self.localReadDoCntB 0 */

/* local read increment b */
/* N/A, lro->1920 */
/* self.localReadDoCntA 0 self.localReadDoCntB 0 */
s_waitcnt lgkmcnt(4)                               // lgkmcnt=0 vmcnt=-1wait for prior local read local write old=0, new=4 newLW=0 newLR=0
.align32 8, 0xbf800001                             // align v_pk_fma
MAC_4x4_X1

/* iter 14 (last unrolled loop) */


/* local read a */
_ds_load_b64 v[vgprValuA_X1_I0+0:vgprValuA_X1_I0+0+1], v[vgprLocalReadAddrA] offset:1920 // L -> Reg lro=960 swapByteOffset=0 ti=8 vIdx=0 rIdx=0 oIdx=0 buffer=1 iui=0

/* local read b */
_ds_load_b64 v[vgprValuB_X1_I0+0:vgprValuB_X1_I0+0+1], v[vgprLocalReadAddrB] offset:3840 // L -> Reg lro=1920 swapByteOffset=0 ti=16 vIdx=0 rIdx=0 oIdx=0 buffer=1 iui=0

/* local read increment a */
/* N/A, lro->992 */
/* self.localReadDoCntA 0 self.localReadDoCntB 0 */

/* local read increment b */
/* N/A, lro->1984 */
/* self.localReadDoCntA 0 self.localReadDoCntB 0 */

/* local read a */
_ds_load_b64 v[vgprValuA_X1_I1+0:vgprValuA_X1_I1+0+1], v[vgprLocalReadAddrA] offset:1984 // L -> Reg lro=992 swapByteOffset=0 ti=8 vIdx=0 rIdx=0 oIdx=0 buffer=1 iui=1

/* local read b */
_ds_load_b64 v[vgprValuB_X1_I1+0:vgprValuB_X1_I1+0+1], v[vgprLocalReadAddrB] offset:3968 // L -> Reg lro=1984 swapByteOffset=0 ti=16 vIdx=0 rIdx=0 oIdx=0 buffer=1 iui=1

/* local read increment a */
/* N/A, lro->1024 */
/* self.localReadDoCntA 0 self.localReadDoCntB 0 */

/* local read increment b */
/* N/A, lro->2048 */
/* self.localReadDoCntA 0 self.localReadDoCntB 0 */
s_waitcnt lgkmcnt(4)                               // lgkmcnt=0 vmcnt=-1wait for prior local read local write old=0, new=4 newLW=0 newLR=0
.align32 8, 0xbf800001                             // align v_pk_fma
MAC_4x4_X0

/* iter 15 (last unrolled loop) */


/* local read a */
_ds_load_b64 v[vgprValuA_X0_I0+0:vgprValuA_X0_I0+0+1], v[vgprLocalReadAddrA] offset:2048 // L -> Reg lro=1024 swapByteOffset=0 ti=8 vIdx=0 rIdx=0 oIdx=0 buffer=0 iui=0

/* local read b */
_ds_load_b64 v[vgprValuB_X0_I0+0:vgprValuB_X0_I0+0+1], v[vgprLocalReadAddrB] offset:4096 // L -> Reg lro=2048 swapByteOffset=0 ti=16 vIdx=0 rIdx=0 oIdx=0 buffer=0 iui=0

/* local read increment a */
/* N/A, lro->1056 */
/* self.localReadDoCntA 0 self.localReadDoCntB 0 */

/* local read increment b */
/* N/A, lro->2112 */
/* self.localReadDoCntA 0 self.localReadDoCntB 0 */

/* local read a */
_ds_load_b64 v[vgprValuA_X0_I1+0:vgprValuA_X0_I1+0+1], v[vgprLocalReadAddrA] offset:2112 // L -> Reg lro=1056 swapByteOffset=0 ti=8 vIdx=0 rIdx=0 oIdx=0 buffer=0 iui=1

/* local read b */
_ds_load_b64 v[vgprValuB_X0_I1+0:vgprValuB_X0_I1+0+1], v[vgprLocalReadAddrB] offset:4224 // L -> Reg lro=2112 swapByteOffset=0 ti=16 vIdx=0 rIdx=0 oIdx=0 buffer=0 iui=1

/* local read increment a */
/* N/A, lro->1088 */
/* self.localReadDoCntA 0 self.localReadDoCntB 0 */

/* local read increment b */
/* N/A, lro->2176 */
/* self.localReadDoCntA 0 self.localReadDoCntB 0 */
s_waitcnt lgkmcnt(4)                               // lgkmcnt=0 vmcnt=-1wait for prior local read local write old=0, new=4 newLW=0 newLR=0
.align32 8, 0xbf800001                             // align v_pk_fma
MAC_4x4_X1

/* iter 16 (last unrolled loop) */


/* local read a */
_ds_load_b64 v[vgprValuA_X1_I0+0:vgprValuA_X1_I0+0+1], v[vgprLocalReadAddrA] offset:2176 // L -> Reg lro=1088 swapByteOffset=0 ti=8 vIdx=0 rIdx=0 oIdx=0 buffer=1 iui=0

/* local read b */
_ds_load_b64 v[vgprValuB_X1_I0+0:vgprValuB_X1_I0+0+1], v[vgprLocalReadAddrB] offset:4352 // L -> Reg lro=2176 swapByteOffset=0 ti=16 vIdx=0 rIdx=0 oIdx=0 buffer=1 iui=0

/* local read increment a */
/* N/A, lro->1120 */
/* self.localReadDoCntA 0 self.localReadDoCntB 0 */

/* local read increment b */
/* N/A, lro->2240 */
/* self.localReadDoCntA 0 self.localReadDoCntB 0 */

/* local read a */
_ds_load_b64 v[vgprValuA_X1_I1+0:vgprValuA_X1_I1+0+1], v[vgprLocalReadAddrA] offset:2240 // L -> Reg lro=1120 swapByteOffset=0 ti=8 vIdx=0 rIdx=0 oIdx=0 buffer=1 iui=1

/* local read b */
_ds_load_b64 v[vgprValuB_X1_I1+0:vgprValuB_X1_I1+0+1], v[vgprLocalReadAddrB] offset:4480 // L -> Reg lro=2240 swapByteOffset=0 ti=16 vIdx=0 rIdx=0 oIdx=0 buffer=1 iui=1

/* local read increment a */
/* N/A, lro->1152 */
/* self.localReadDoCntA 0 self.localReadDoCntB 0 */

/* local read increment b */
/* N/A, lro->2304 */
/* self.localReadDoCntA 0 self.localReadDoCntB 0 */
s_waitcnt lgkmcnt(4)                               // lgkmcnt=0 vmcnt=-1wait for prior local read local write old=0, new=4 newLW=0 newLR=0
.align32 8, 0xbf800001                             // align v_pk_fma
MAC_4x4_X0

/* iter 17 (last unrolled loop) */


/* local read a */
_ds_load_b64 v[vgprValuA_X0_I0+0:vgprValuA_X0_I0+0+1], v[vgprLocalReadAddrA] offset:2304 // L -> Reg lro=1152 swapByteOffset=0 ti=8 vIdx=0 rIdx=0 oIdx=0 buffer=0 iui=0

/* local read b */
_ds_load_b64 v[vgprValuB_X0_I0+0:vgprValuB_X0_I0+0+1], v[vgprLocalReadAddrB] offset:4608 // L -> Reg lro=2304 swapByteOffset=0 ti=16 vIdx=0 rIdx=0 oIdx=0 buffer=0 iui=0

/* local read increment a */
/* N/A, lro->1184 */
/* self.localReadDoCntA 0 self.localReadDoCntB 0 */

/* local read increment b */
/* N/A, lro->2368 */
/* self.localReadDoCntA 0 self.localReadDoCntB 0 */

/* local read a */
_ds_load_b64 v[vgprValuA_X0_I1+0:vgprValuA_X0_I1+0+1], v[vgprLocalReadAddrA] offset:2368 // L -> Reg lro=1184 swapByteOffset=0 ti=8 vIdx=0 rIdx=0 oIdx=0 buffer=0 iui=1

/* local read b */
_ds_load_b64 v[vgprValuB_X0_I1+0:vgprValuB_X0_I1+0+1], v[vgprLocalReadAddrB] offset:4736 // L -> Reg lro=2368 swapByteOffset=0 ti=16 vIdx=0 rIdx=0 oIdx=0 buffer=0 iui=1

/* local read increment a */
/* N/A, lro->1216 */
/* self.localReadDoCntA 0 self.localReadDoCntB 0 */

/* local read increment b */
/* N/A, lro->2432 */
/* self.localReadDoCntA 0 self.localReadDoCntB 0 */
s_waitcnt lgkmcnt(4)                               // lgkmcnt=0 vmcnt=-1wait for prior local read local write old=0, new=4 newLW=0 newLR=0
.align32 8, 0xbf800001                             // align v_pk_fma
MAC_4x4_X1

/* iter 18 (last unrolled loop) */


/* local read a */
_ds_load_b64 v[vgprValuA_X1_I0+0:vgprValuA_X1_I0+0+1], v[vgprLocalReadAddrA] offset:2432 // L -> Reg lro=1216 swapByteOffset=0 ti=8 vIdx=0 rIdx=0 oIdx=0 buffer=1 iui=0

/* local read b */
_ds_load_b64 v[vgprValuB_X1_I0+0:vgprValuB_X1_I0+0+1], v[vgprLocalReadAddrB] offset:4864 // L -> Reg lro=2432 swapByteOffset=0 ti=16 vIdx=0 rIdx=0 oIdx=0 buffer=1 iui=0

/* local read increment a */
/* N/A, lro->1248 */
/* self.localReadDoCntA 0 self.localReadDoCntB 0 */

/* local read increment b */
/* N/A, lro->2496 */
/* self.localReadDoCntA 0 self.localReadDoCntB 0 */

/* local read a */
_ds_load_b64 v[vgprValuA_X1_I1+0:vgprValuA_X1_I1+0+1], v[vgprLocalReadAddrA] offset:2496 // L -> Reg lro=1248 swapByteOffset=0 ti=8 vIdx=0 rIdx=0 oIdx=0 buffer=1 iui=1

/* local read b */
_ds_load_b64 v[vgprValuB_X1_I1+0:vgprValuB_X1_I1+0+1], v[vgprLocalReadAddrB] offset:4992 // L -> Reg lro=2496 swapByteOffset=0 ti=16 vIdx=0 rIdx=0 oIdx=0 buffer=1 iui=1

/* local read increment a */
/* N/A, lro->1280 */
/* self.localReadDoCntA 0 self.localReadDoCntB 0 */

/* local read increment b */
/* N/A, lro->2560 */
/* self.localReadDoCntA 0 self.localReadDoCntB 0 */
s_waitcnt lgkmcnt(4)                               // lgkmcnt=0 vmcnt=-1wait for prior local read local write old=0, new=4 newLW=0 newLR=0
.align32 8, 0xbf800001                             // align v_pk_fma
MAC_4x4_X0

/* iter 19 (last unrolled loop) */


/* local read a */
_ds_load_b64 v[vgprValuA_X0_I0+0:vgprValuA_X0_I0+0+1], v[vgprLocalReadAddrA] offset:2560 // L -> Reg lro=1280 swapByteOffset=0 ti=8 vIdx=0 rIdx=0 oIdx=0 buffer=0 iui=0

/* local read b */
_ds_load_b64 v[vgprValuB_X0_I0+0:vgprValuB_X0_I0+0+1], v[vgprLocalReadAddrB] offset:5120 // L -> Reg lro=2560 swapByteOffset=0 ti=16 vIdx=0 rIdx=0 oIdx=0 buffer=0 iui=0

/* local read increment a */
/* N/A, lro->1312 */
/* self.localReadDoCntA 0 self.localReadDoCntB 0 */

/* local read increment b */
/* N/A, lro->2624 */
/* self.localReadDoCntA 0 self.localReadDoCntB 0 */

/* local read a */
_ds_load_b64 v[vgprValuA_X0_I1+0:vgprValuA_X0_I1+0+1], v[vgprLocalReadAddrA] offset:2624 // L -> Reg lro=1312 swapByteOffset=0 ti=8 vIdx=0 rIdx=0 oIdx=0 buffer=0 iui=1

/* local read b */
_ds_load_b64 v[vgprValuB_X0_I1+0:vgprValuB_X0_I1+0+1], v[vgprLocalReadAddrB] offset:5248 // L -> Reg lro=2624 swapByteOffset=0 ti=16 vIdx=0 rIdx=0 oIdx=0 buffer=0 iui=1

/* local read increment a */
/* N/A, lro->1344 */
/* self.localReadDoCntA 0 self.localReadDoCntB 0 */

/* local read increment b */
/* N/A, lro->2688 */
/* self.localReadDoCntA 0 self.localReadDoCntB 0 */
s_waitcnt lgkmcnt(4)                               // lgkmcnt=0 vmcnt=-1wait for prior local read local write old=0, new=4 newLW=0 newLR=0
.align32 8, 0xbf800001                             // align v_pk_fma
MAC_4x4_X1

/* iter 20 (last unrolled loop) */


/* local read a */
_ds_load_b64 v[vgprValuA_X1_I0+0:vgprValuA_X1_I0+0+1], v[vgprLocalReadAddrA] offset:2688 // L -> Reg lro=1344 swapByteOffset=0 ti=8 vIdx=0 rIdx=0 oIdx=0 buffer=1 iui=0

/* local read b */
_ds_load_b64 v[vgprValuB_X1_I0+0:vgprValuB_X1_I0+0+1], v[vgprLocalReadAddrB] offset:5376 // L -> Reg lro=2688 swapByteOffset=0 ti=16 vIdx=0 rIdx=0 oIdx=0 buffer=1 iui=0

/* local read increment a */
/* N/A, lro->1376 */
/* self.localReadDoCntA 0 self.localReadDoCntB 0 */

/* local read increment b */
/* N/A, lro->2752 */
/* self.localReadDoCntA 0 self.localReadDoCntB 0 */

/* local read a */
_ds_load_b64 v[vgprValuA_X1_I1+0:vgprValuA_X1_I1+0+1], v[vgprLocalReadAddrA] offset:2752 // L -> Reg lro=1376 swapByteOffset=0 ti=8 vIdx=0 rIdx=0 oIdx=0 buffer=1 iui=1

/* local read b */
_ds_load_b64 v[vgprValuB_X1_I1+0:vgprValuB_X1_I1+0+1], v[vgprLocalReadAddrB] offset:5504 // L -> Reg lro=2752 swapByteOffset=0 ti=16 vIdx=0 rIdx=0 oIdx=0 buffer=1 iui=1

/* local read increment a */
/* N/A, lro->1408 */
/* self.localReadDoCntA 0 self.localReadDoCntB 0 */

/* local read increment b */
/* N/A, lro->2816 */
/* self.localReadDoCntA 0 self.localReadDoCntB 0 */
s_waitcnt lgkmcnt(4)                               // lgkmcnt=0 vmcnt=-1wait for prior local read local write old=0, new=4 newLW=0 newLR=0
.align32 8, 0xbf800001                             // align v_pk_fma
MAC_4x4_X0

/* iter 21 (last unrolled loop) */


/* local read a */
_ds_load_b64 v[vgprValuA_X0_I0+0:vgprValuA_X0_I0+0+1], v[vgprLocalReadAddrA] offset:2816 // L -> Reg lro=1408 swapByteOffset=0 ti=8 vIdx=0 rIdx=0 oIdx=0 buffer=0 iui=0

/* local read b */
_ds_load_b64 v[vgprValuB_X0_I0+0:vgprValuB_X0_I0+0+1], v[vgprLocalReadAddrB] offset:5632 // L -> Reg lro=2816 swapByteOffset=0 ti=16 vIdx=0 rIdx=0 oIdx=0 buffer=0 iui=0

/* local read increment a */
/* N/A, lro->1440 */
/* self.localReadDoCntA 0 self.localReadDoCntB 0 */

/* local read increment b */
/* N/A, lro->2880 */
/* self.localReadDoCntA 0 self.localReadDoCntB 0 */

/* local read a */
_ds_load_b64 v[vgprValuA_X0_I1+0:vgprValuA_X0_I1+0+1], v[vgprLocalReadAddrA] offset:2880 // L -> Reg lro=1440 swapByteOffset=0 ti=8 vIdx=0 rIdx=0 oIdx=0 buffer=0 iui=1

/* local read b */
_ds_load_b64 v[vgprValuB_X0_I1+0:vgprValuB_X0_I1+0+1], v[vgprLocalReadAddrB] offset:5760 // L -> Reg lro=2880 swapByteOffset=0 ti=16 vIdx=0 rIdx=0 oIdx=0 buffer=0 iui=1

/* local read increment a */
/* N/A, lro->1472 */
/* self.localReadDoCntA 0 self.localReadDoCntB 0 */

/* local read increment b */
/* N/A, lro->2944 */
/* self.localReadDoCntA 0 self.localReadDoCntB 0 */
s_waitcnt lgkmcnt(4)                               // lgkmcnt=0 vmcnt=-1wait for prior local read local write old=0, new=4 newLW=0 newLR=0
.align32 8, 0xbf800001                             // align v_pk_fma
MAC_4x4_X1

/* iter 22 (last unrolled loop) */


/* local read a */
_ds_load_b64 v[vgprValuA_X1_I0+0:vgprValuA_X1_I0+0+1], v[vgprLocalReadAddrA] offset:2944 // L -> Reg lro=1472 swapByteOffset=0 ti=8 vIdx=0 rIdx=0 oIdx=0 buffer=1 iui=0

/* local read b */
_ds_load_b64 v[vgprValuB_X1_I0+0:vgprValuB_X1_I0+0+1], v[vgprLocalReadAddrB] offset:5888 // L -> Reg lro=2944 swapByteOffset=0 ti=16 vIdx=0 rIdx=0 oIdx=0 buffer=1 iui=0

/* local read increment a */
/* N/A, lro->1504 */
/* self.localReadDoCntA 0 self.localReadDoCntB 0 */

/* local read increment b */
/* N/A, lro->3008 */
/* self.localReadDoCntA 0 self.localReadDoCntB 0 */

/* local read a */
_ds_load_b64 v[vgprValuA_X1_I1+0:vgprValuA_X1_I1+0+1], v[vgprLocalReadAddrA] offset:3008 // L -> Reg lro=1504 swapByteOffset=0 ti=8 vIdx=0 rIdx=0 oIdx=0 buffer=1 iui=1

/* local read b */
_ds_load_b64 v[vgprValuB_X1_I1+0:vgprValuB_X1_I1+0+1], v[vgprLocalReadAddrB] offset:6016 // L -> Reg lro=3008 swapByteOffset=0 ti=16 vIdx=0 rIdx=0 oIdx=0 buffer=1 iui=1

/* local read increment a */
/* N/A, lro->1536 */
/* self.localReadDoCntA 0 self.localReadDoCntB 0 */

/* local read increment b */
/* N/A, lro->3072 */
/* self.localReadDoCntA 0 self.localReadDoCntB 0 */
s_waitcnt lgkmcnt(4)                               // lgkmcnt=0 vmcnt=-1wait for prior local read local write old=0, new=4 newLW=0 newLR=0
.align32 8, 0xbf800001                             // align v_pk_fma
MAC_4x4_X0

/* iter 23 (last unrolled loop) */


/* local read a */
_ds_load_b64 v[vgprValuA_X0_I0+0:vgprValuA_X0_I0+0+1], v[vgprLocalReadAddrA] offset:3072 // L -> Reg lro=1536 swapByteOffset=0 ti=8 vIdx=0 rIdx=0 oIdx=0 buffer=0 iui=0

/* local read b */
_ds_load_b64 v[vgprValuB_X0_I0+0:vgprValuB_X0_I0+0+1], v[vgprLocalReadAddrB] offset:6144 // L -> Reg lro=3072 swapByteOffset=0 ti=16 vIdx=0 rIdx=0 oIdx=0 buffer=0 iui=0

/* local read increment a */
/* N/A, lro->1568 */
/* self.localReadDoCntA 0 self.localReadDoCntB 0 */

/* local read increment b */
/* N/A, lro->3136 */
/* self.localReadDoCntA 0 self.localReadDoCntB 0 */

/* local read a */
_ds_load_b64 v[vgprValuA_X0_I1+0:vgprValuA_X0_I1+0+1], v[vgprLocalReadAddrA] offset:3136 // L -> Reg lro=1568 swapByteOffset=0 ti=8 vIdx=0 rIdx=0 oIdx=0 buffer=0 iui=1

/* local read b */
_ds_load_b64 v[vgprValuB_X0_I1+0:vgprValuB_X0_I1+0+1], v[vgprLocalReadAddrB] offset:6272 // L -> Reg lro=3136 swapByteOffset=0 ti=16 vIdx=0 rIdx=0 oIdx=0 buffer=0 iui=1

/* local read increment a */
/* N/A, lro->1600 */
/* self.localReadDoCntA 0 self.localReadDoCntB 0 */

/* local read increment b */
/* N/A, lro->3200 */
/* self.localReadDoCntA 0 self.localReadDoCntB 0 */
s_waitcnt lgkmcnt(4)                               // lgkmcnt=0 vmcnt=-1wait for prior local read local write old=0, new=4 newLW=0 newLR=0
.align32 8, 0xbf800001                             // align v_pk_fma
MAC_4x4_X1

/* iter 24 (last unrolled loop) */


/* local read a */
_ds_load_b64 v[vgprValuA_X1_I0+0:vgprValuA_X1_I0+0+1], v[vgprLocalReadAddrA] offset:3200 // L -> Reg lro=1600 swapByteOffset=0 ti=8 vIdx=0 rIdx=0 oIdx=0 buffer=1 iui=0

/* local read b */
_ds_load_b64 v[vgprValuB_X1_I0+0:vgprValuB_X1_I0+0+1], v[vgprLocalReadAddrB] offset:6400 // L -> Reg lro=3200 swapByteOffset=0 ti=16 vIdx=0 rIdx=0 oIdx=0 buffer=1 iui=0

/* local read increment a */
/* N/A, lro->1632 */
/* self.localReadDoCntA 0 self.localReadDoCntB 0 */

/* local read increment b */
/* N/A, lro->3264 */
/* self.localReadDoCntA 0 self.localReadDoCntB 0 */

/* local read a */
_ds_load_b64 v[vgprValuA_X1_I1+0:vgprValuA_X1_I1+0+1], v[vgprLocalReadAddrA] offset:3264 // L -> Reg lro=1632 swapByteOffset=0 ti=8 vIdx=0 rIdx=0 oIdx=0 buffer=1 iui=1

/* local read b */
_ds_load_b64 v[vgprValuB_X1_I1+0:vgprValuB_X1_I1+0+1], v[vgprLocalReadAddrB] offset:6528 // L -> Reg lro=3264 swapByteOffset=0 ti=16 vIdx=0 rIdx=0 oIdx=0 buffer=1 iui=1

/* local read increment a */
/* N/A, lro->1664 */
/* self.localReadDoCntA 0 self.localReadDoCntB 0 */

/* local read increment b */
/* N/A, lro->3328 */
/* self.localReadDoCntA 0 self.localReadDoCntB 0 */
s_waitcnt lgkmcnt(4)                               // lgkmcnt=0 vmcnt=-1wait for prior local read local write old=0, new=4 newLW=0 newLR=0
.align32 8, 0xbf800001                             // align v_pk_fma
MAC_4x4_X0

/* iter 25 (last unrolled loop) */


/* local read a */
_ds_load_b64 v[vgprValuA_X0_I0+0:vgprValuA_X0_I0+0+1], v[vgprLocalReadAddrA] offset:3328 // L -> Reg lro=1664 swapByteOffset=0 ti=8 vIdx=0 rIdx=0 oIdx=0 buffer=0 iui=0

/* local read b */
_ds_load_b64 v[vgprValuB_X0_I0+0:vgprValuB_X0_I0+0+1], v[vgprLocalReadAddrB] offset:6656 // L -> Reg lro=3328 swapByteOffset=0 ti=16 vIdx=0 rIdx=0 oIdx=0 buffer=0 iui=0

/* local read increment a */
/* N/A, lro->1696 */
/* self.localReadDoCntA 0 self.localReadDoCntB 0 */

/* local read increment b */
/* N/A, lro->3392 */
/* self.localReadDoCntA 0 self.localReadDoCntB 0 */

/* local read a */
_ds_load_b64 v[vgprValuA_X0_I1+0:vgprValuA_X0_I1+0+1], v[vgprLocalReadAddrA] offset:3392 // L -> Reg lro=1696 swapByteOffset=0 ti=8 vIdx=0 rIdx=0 oIdx=0 buffer=0 iui=1

/* local read b */
_ds_load_b64 v[vgprValuB_X0_I1+0:vgprValuB_X0_I1+0+1], v[vgprLocalReadAddrB] offset:6784 // L -> Reg lro=3392 swapByteOffset=0 ti=16 vIdx=0 rIdx=0 oIdx=0 buffer=0 iui=1

/* local read increment a */
/* N/A, lro->1728 */
/* self.localReadDoCntA 0 self.localReadDoCntB 0 */

/* local read increment b */
/* N/A, lro->3456 */
/* self.localReadDoCntA 0 self.localReadDoCntB 0 */
s_waitcnt lgkmcnt(4)                               // lgkmcnt=0 vmcnt=-1wait for prior local read local write old=0, new=4 newLW=0 newLR=0
.align32 8, 0xbf800001                             // align v_pk_fma
MAC_4x4_X1

/* iter 26 (last unrolled loop) */


/* local read a */
_ds_load_b64 v[vgprValuA_X1_I0+0:vgprValuA_X1_I0+0+1], v[vgprLocalReadAddrA] offset:3456 // L -> Reg lro=1728 swapByteOffset=0 ti=8 vIdx=0 rIdx=0 oIdx=0 buffer=1 iui=0

/* local read b */
_ds_load_b64 v[vgprValuB_X1_I0+0:vgprValuB_X1_I0+0+1], v[vgprLocalReadAddrB] offset:6912 // L -> Reg lro=3456 swapByteOffset=0 ti=16 vIdx=0 rIdx=0 oIdx=0 buffer=1 iui=0

/* local read increment a */
/* N/A, lro->1760 */
/* self.localReadDoCntA 0 self.localReadDoCntB 0 */

/* local read increment b */
/* N/A, lro->3520 */
/* self.localReadDoCntA 0 self.localReadDoCntB 0 */

/* local read a */
_ds_load_b64 v[vgprValuA_X1_I1+0:vgprValuA_X1_I1+0+1], v[vgprLocalReadAddrA] offset:3520 // L -> Reg lro=1760 swapByteOffset=0 ti=8 vIdx=0 rIdx=0 oIdx=0 buffer=1 iui=1

/* local read b */
_ds_load_b64 v[vgprValuB_X1_I1+0:vgprValuB_X1_I1+0+1], v[vgprLocalReadAddrB] offset:7040 // L -> Reg lro=3520 swapByteOffset=0 ti=16 vIdx=0 rIdx=0 oIdx=0 buffer=1 iui=1

/* local read increment a */
/* N/A, lro->1792 */
/* self.localReadDoCntA 0 self.localReadDoCntB 0 */

/* local read increment b */
/* N/A, lro->3584 */
/* self.localReadDoCntA 0 self.localReadDoCntB 0 */
s_waitcnt lgkmcnt(4)                               // lgkmcnt=0 vmcnt=-1wait for prior local read local write old=0, new=4 newLW=0 newLR=0
.align32 8, 0xbf800001                             // align v_pk_fma
MAC_4x4_X0

/* iter 27 (last unrolled loop) */


/* local read a */
_ds_load_b64 v[vgprValuA_X0_I0+0:vgprValuA_X0_I0+0+1], v[vgprLocalReadAddrA] offset:3584 // L -> Reg lro=1792 swapByteOffset=0 ti=8 vIdx=0 rIdx=0 oIdx=0 buffer=0 iui=0

/* local read b */
_ds_load_b64 v[vgprValuB_X0_I0+0:vgprValuB_X0_I0+0+1], v[vgprLocalReadAddrB] offset:7168 // L -> Reg lro=3584 swapByteOffset=0 ti=16 vIdx=0 rIdx=0 oIdx=0 buffer=0 iui=0

/* local read increment a */
/* N/A, lro->1824 */
/* self.localReadDoCntA 0 self.localReadDoCntB 0 */

/* local read increment b */
/* N/A, lro->3648 */
/* self.localReadDoCntA 0 self.localReadDoCntB 0 */

/* local read a */
_ds_load_b64 v[vgprValuA_X0_I1+0:vgprValuA_X0_I1+0+1], v[vgprLocalReadAddrA] offset:3648 // L -> Reg lro=1824 swapByteOffset=0 ti=8 vIdx=0 rIdx=0 oIdx=0 buffer=0 iui=1

/* local read b */
_ds_load_b64 v[vgprValuB_X0_I1+0:vgprValuB_X0_I1+0+1], v[vgprLocalReadAddrB] offset:7296 // L -> Reg lro=3648 swapByteOffset=0 ti=16 vIdx=0 rIdx=0 oIdx=0 buffer=0 iui=1

/* local read increment a */
/* N/A, lro->1856 */
/* self.localReadDoCntA 0 self.localReadDoCntB 0 */

/* local read increment b */
/* N/A, lro->3712 */
/* self.localReadDoCntA 0 self.localReadDoCntB 0 */
s_waitcnt lgkmcnt(4)                               // lgkmcnt=0 vmcnt=-1wait for prior local read local write old=0, new=4 newLW=0 newLR=0
.align32 8, 0xbf800001                             // align v_pk_fma
MAC_4x4_X1

/* iter 28 (last unrolled loop) */


/* local read a */
_ds_load_b64 v[vgprValuA_X1_I0+0:vgprValuA_X1_I0+0+1], v[vgprLocalReadAddrA] offset:3712 // L -> Reg lro=1856 swapByteOffset=0 ti=8 vIdx=0 rIdx=0 oIdx=0 buffer=1 iui=0

/* local read b */
_ds_load_b64 v[vgprValuB_X1_I0+0:vgprValuB_X1_I0+0+1], v[vgprLocalReadAddrB] offset:7424 // L -> Reg lro=3712 swapByteOffset=0 ti=16 vIdx=0 rIdx=0 oIdx=0 buffer=1 iui=0

/* local read increment a */
/* N/A, lro->1888 */
/* self.localReadDoCntA 0 self.localReadDoCntB 0 */

/* local read increment b */
/* N/A, lro->3776 */
/* self.localReadDoCntA 0 self.localReadDoCntB 0 */

/* local read a */
_ds_load_b64 v[vgprValuA_X1_I1+0:vgprValuA_X1_I1+0+1], v[vgprLocalReadAddrA] offset:3776 // L -> Reg lro=1888 swapByteOffset=0 ti=8 vIdx=0 rIdx=0 oIdx=0 buffer=1 iui=1

/* local read b */
_ds_load_b64 v[vgprValuB_X1_I1+0:vgprValuB_X1_I1+0+1], v[vgprLocalReadAddrB] offset:7552 // L -> Reg lro=3776 swapByteOffset=0 ti=16 vIdx=0 rIdx=0 oIdx=0 buffer=1 iui=1

/* local read increment a */
/* N/A, lro->1920 */
/* self.localReadDoCntA 0 self.localReadDoCntB 0 */

/* local read increment b */
/* N/A, lro->3840 */
/* self.localReadDoCntA 0 self.localReadDoCntB 0 */
s_waitcnt lgkmcnt(4)                               // lgkmcnt=0 vmcnt=-1wait for prior local read local write old=0, new=4 newLW=0 newLR=0
.align32 8, 0xbf800001                             // align v_pk_fma
MAC_4x4_X0

/* iter 29 (last unrolled loop) */


/* local read a */
_ds_load_b64 v[vgprValuA_X0_I0+0:vgprValuA_X0_I0+0+1], v[vgprLocalReadAddrA] offset:3840 // L -> Reg lro=1920 swapByteOffset=0 ti=8 vIdx=0 rIdx=0 oIdx=0 buffer=0 iui=0

/* local read b */
_ds_load_b64 v[vgprValuB_X0_I0+0:vgprValuB_X0_I0+0+1], v[vgprLocalReadAddrB] offset:7680 // L -> Reg lro=3840 swapByteOffset=0 ti=16 vIdx=0 rIdx=0 oIdx=0 buffer=0 iui=0

/* local read increment a */
/* N/A, lro->1952 */
/* self.localReadDoCntA 0 self.localReadDoCntB 0 */

/* local read increment b */
/* N/A, lro->3904 */
/* self.localReadDoCntA 0 self.localReadDoCntB 0 */

/* local read a */
_ds_load_b64 v[vgprValuA_X0_I1+0:vgprValuA_X0_I1+0+1], v[vgprLocalReadAddrA] offset:3904 // L -> Reg lro=1952 swapByteOffset=0 ti=8 vIdx=0 rIdx=0 oIdx=0 buffer=0 iui=1

/* local read b */
_ds_load_b64 v[vgprValuB_X0_I1+0:vgprValuB_X0_I1+0+1], v[vgprLocalReadAddrB] offset:7808 // L -> Reg lro=3904 swapByteOffset=0 ti=16 vIdx=0 rIdx=0 oIdx=0 buffer=0 iui=1

/* local read increment a */
/* N/A, lro->1984 */
/* self.localReadDoCntA 0 self.localReadDoCntB 0 */

/* local read increment b */
/* N/A, lro->3968 */
/* self.localReadDoCntA 0 self.localReadDoCntB 0 */
s_waitcnt lgkmcnt(4)                               // lgkmcnt=0 vmcnt=-1wait for prior local read local write old=0, new=4 newLW=0 newLR=0
.align32 8, 0xbf800001                             // align v_pk_fma
MAC_4x4_X1

/* iter 30 (last unrolled loop) */


/* local read a */
_ds_load_b64 v[vgprValuA_X1_I0+0:vgprValuA_X1_I0+0+1], v[vgprLocalReadAddrA] offset:3968 // L -> Reg lro=1984 swapByteOffset=0 ti=8 vIdx=0 rIdx=0 oIdx=0 buffer=1 iui=0

/* local read b */
_ds_load_b64 v[vgprValuB_X1_I0+0:vgprValuB_X1_I0+0+1], v[vgprLocalReadAddrB] offset:7936 // L -> Reg lro=3968 swapByteOffset=0 ti=16 vIdx=0 rIdx=0 oIdx=0 buffer=1 iui=0

/* local read increment a */
/* N/A, lro->2016 */
/* self.localReadDoCntA 0 self.localReadDoCntB 0 */

/* local read increment b */
/* N/A, lro->4032 */
/* self.localReadDoCntA 0 self.localReadDoCntB 0 */

/* local read a */
_ds_load_b64 v[vgprValuA_X1_I1+0:vgprValuA_X1_I1+0+1], v[vgprLocalReadAddrA] offset:4032 // L -> Reg lro=2016 swapByteOffset=0 ti=8 vIdx=0 rIdx=0 oIdx=0 buffer=1 iui=1

/* local read b */
_ds_load_b64 v[vgprValuB_X1_I1+0:vgprValuB_X1_I1+0+1], v[vgprLocalReadAddrB] offset:8064 // L -> Reg lro=4032 swapByteOffset=0 ti=16 vIdx=0 rIdx=0 oIdx=0 buffer=1 iui=1
s_waitcnt lgkmcnt(4)                               // lgkmcnt=0 vmcnt=-1wait for prior local read local write old=0, new=4 newLW=0 newLR=0
.align32 8, 0xbf800001                             // align v_pk_fma
MAC_4x4_X0

/* iter 31 (last unrolled loop) */

s_waitcnt lgkmcnt(0)                               // lgkmcnt=0 vmcnt=-1wait for prior local read local write old=0, new=0 newLW=0 newLR=0
.align32 8, 0xbf800001                             // align v_pk_fma
MAC_4x4_X1
PrefetchGlobalLastIterEnd_5:


/******************************************/
/* Tail Loop                              */
/******************************************/


/* local write reset offsets a */


v_and_b32 v[vgprLocalWriteAddrA], 0xf03fff, v[vgprLocalWriteAddrA] // reset to Red


/* local write reset offsets b */


v_and_b32 v[vgprLocalWriteAddrB], 0xf03fff, v[vgprLocalWriteAddrB] // reset to Red


//numIterL = (((sizeL % LOCAL_DEPTHU) + LOCAL_SPLITU - 1) / LOCAL_SPLITU)
s_and_b32 s[sgprLoopCounterL], 63, s[sgprSizesSum+0] // s[sgprLoopCounterL] = s[sgprSizesSum+0] % 64
s_cmp_eq_u32 s[sgprLoopCounterL], 0x0              // numIterL == 0
s_cbranch_scc1 SkipTailLoopL_8                     // skip to end of tail loop b/c numIter==0
s_mov_b32 s[sgprOrigLoopCounter], 0                // repurpose to count each localRead increment


/* remove stagger offsets for tail loop */

s_mov_b32 s40, 3                                   // 
s_mul_hi_u32 s39, s40, s[sgprGlobalReadIncsA+0]    // 3 * GlobalReadIncs
s_mul_i32 s38, s40, s[sgprGlobalReadIncsA+0]       // 3 * GlobalReadIncs
s_mul_hi_u32 s41, s[sgprStaggerUIter], s[sgprGlobalReadIncsA+0] // StaggerUIter * GlobalReadIncs
s_mul_i32 s40, s[sgprStaggerUIter], s[sgprGlobalReadIncsA+0] // StaggerUIter * GlobalReadIncs
s_sub_u32 s38, s38, s40                            // start offset S in bytes
s_subb_u32 s39, s39, s41                           // start offset S in bytes
s_sub_u32 s38, s38, s[sgprWrapUA]                  // S - WrapU
s_subb_u32 s39, s39, s[sgprWrapUA+1]               // S - WrapU
s_add_u32 s[sgprSrdA+0], s[sgprSrdA+0], s38        // gra SRD += inc(lower)
s_addc_u32  s[sgprSrdA+1], s[sgprSrdA+1], s39      // gra SRD += inc(upper)
s_sub_u32 s[sgprShadowLimitA+0], s[sgprShadowLimitA+0], s38 // limit -= inc)
s_subb_u32 s[sgprShadowLimitA+1], s[sgprShadowLimitA+1], s39 // limit -= inc)
s_cmp_eq_u32 s[sgprShadowLimitA+1], 0              // are we within 2^32?
s_cselect_b32 s[sgprSrdA+2], s[sgprShadowLimitA+0], BufferLimitA // Move shadow to real if we are within 2^32

s_mov_b32 s40, 3                                   // 
s_mul_hi_u32 s39, s40, s[sgprGlobalReadIncsB+0]    // 3 * GlobalReadIncs
s_mul_i32 s38, s40, s[sgprGlobalReadIncsB+0]       // 3 * GlobalReadIncs
s_mul_hi_u32 s41, s[sgprStaggerUIter], s[sgprGlobalReadIncsB+0] // StaggerUIter * GlobalReadIncs
s_mul_i32 s40, s[sgprStaggerUIter], s[sgprGlobalReadIncsB+0] // StaggerUIter * GlobalReadIncs
s_sub_u32 s38, s38, s40                            // start offset S in bytes
s_subb_u32 s39, s39, s41                           // start offset S in bytes
s_sub_u32 s38, s38, s[sgprWrapUB]                  // S - WrapU
s_subb_u32 s39, s39, s[sgprWrapUB+1]               // S - WrapU
s_add_u32 s[sgprSrdB+0], s[sgprSrdB+0], s38        // gra SRD += inc(lower)
s_addc_u32  s[sgprSrdB+1], s[sgprSrdB+1], s39      // gra SRD += inc(upper)
s_sub_u32 s[sgprShadowLimitB+0], s[sgprShadowLimitB+0], s38 // limit -= inc)
s_subb_u32 s[sgprShadowLimitB+1], s[sgprShadowLimitB+1], s39 // limit -= inc)
s_cmp_eq_u32 s[sgprShadowLimitB+1], 0              // are we within 2^32?
s_cselect_b32 s[sgprSrdB+2], s[sgprShadowLimitB+0], BufferLimitB // Move shadow to real if we are within 2^32


/* Update M0 for DTLDS */


	;; [unrolled: 1-line block ×3, first 2 shown]
/* global read a */

/* g2l=0, load component 0 */
_buffer_load_d16_b16 v[vgprG2LA+0+0], v[vgprGlobalReadOffsetA+0], s[sgprSrdA:sgprSrdA+3], 0, offen offset:0 // load one buffer value
/* g2l=0, load component 1 */
_buffer_load_d16_hi_b16 v73, v[vgprGlobalReadOffsetA+0], s[sgprSrdA:sgprSrdA+3], 0, offen offset:2 // load one buffer value
s_waitcnt vmcnt(0)
v_or_b32 v[vgprG2LA+0+0], v[vgprG2LA+0+0], v73 // HasEccHalf: pack
/* g2l=0, load component 2 */
_buffer_load_d16_b16 v[vgprG2LA+0+1], v[vgprGlobalReadOffsetA+0], s[sgprSrdA:sgprSrdA+3], 0, offen offset:4 // load one buffer value
/* g2l=0, load component 3 */
_buffer_load_d16_hi_b16 v73, v[vgprGlobalReadOffsetA+0], s[sgprSrdA:sgprSrdA+3], 0, offen offset:6 // load one buffer value
s_waitcnt vmcnt(0)
v_or_b32 v[vgprG2LA+0+1], v[vgprG2LA+0+1], v73 // HasEccHalf: pack
	;; [unrolled: 6-line block ×8, first 2 shown]


/* Update M0 for DTLDS */


	;; [unrolled: 1-line block ×3, first 2 shown]
/* global read b */

/* g2l=0, load component 0 */
_buffer_load_d16_b16 v[vgprG2LB+0+0], v[vgprGlobalReadOffsetB+0], s[sgprSrdB:sgprSrdB+3], 0, offen offset:0 // load one buffer value
/* g2l=0, load component 1 */
_buffer_load_d16_hi_b16 v73, v[vgprGlobalReadOffsetB+0], s[sgprSrdB:sgprSrdB+3], 0, offen offset:2 // load one buffer value
s_waitcnt vmcnt(0)
v_or_b32 v[vgprG2LB+0+0], v[vgprG2LB+0+0], v73 // HasEccHalf: pack
/* g2l=0, load component 2 */
_buffer_load_d16_b16 v[vgprG2LB+0+1], v[vgprGlobalReadOffsetB+0], s[sgprSrdB:sgprSrdB+3], 0, offen offset:4 // load one buffer value
/* g2l=0, load component 3 */
_buffer_load_d16_hi_b16 v73, v[vgprGlobalReadOffsetB+0], s[sgprSrdB:sgprSrdB+3], 0, offen offset:6 // load one buffer value
s_waitcnt vmcnt(0)
v_or_b32 v[vgprG2LB+0+1], v[vgprG2LB+0+1], v73 // HasEccHalf: pack
/* g2l=2, load component 0 */
_buffer_load_d16_b16 v[vgprG2LB+2+0], v[vgprGlobalReadOffsetB+1], s[sgprSrdB:sgprSrdB+3], 0, offen offset:0 // load one buffer value
/* g2l=2, load component 1 */
_buffer_load_d16_hi_b16 v73, v[vgprGlobalReadOffsetB+1], s[sgprSrdB:sgprSrdB+3], 0, offen offset:2 // load one buffer value
s_waitcnt vmcnt(0)
v_or_b32 v[vgprG2LB+2+0], v[vgprG2LB+2+0], v73 // HasEccHalf: pack
/* g2l=2, load component 2 */
_buffer_load_d16_b16 v[vgprG2LB+2+1], v[vgprGlobalReadOffsetB+1], s[sgprSrdB:sgprSrdB+3], 0, offen offset:4 // load one buffer value
/* g2l=2, load component 3 */
_buffer_load_d16_hi_b16 v73, v[vgprGlobalReadOffsetB+1], s[sgprSrdB:sgprSrdB+3], 0, offen offset:6 // load one buffer value
s_waitcnt vmcnt(0)
v_or_b32 v[vgprG2LB+2+1], v[vgprG2LB+2+1], v73 // HasEccHalf: pack
/* g2l=4, load component 0 */
_buffer_load_d16_b16 v[vgprG2LB+4+0], v[vgprGlobalReadOffsetB+2], s[sgprSrdB:sgprSrdB+3], 0, offen offset:0 // load one buffer value
/* g2l=4, load component 1 */
_buffer_load_d16_hi_b16 v73, v[vgprGlobalReadOffsetB+2], s[sgprSrdB:sgprSrdB+3], 0, offen offset:2 // load one buffer value
s_waitcnt vmcnt(0)
v_or_b32 v[vgprG2LB+4+0], v[vgprG2LB+4+0], v73 // HasEccHalf: pack
/* g2l=4, load component 2 */
_buffer_load_d16_b16 v[vgprG2LB+4+1], v[vgprGlobalReadOffsetB+2], s[sgprSrdB:sgprSrdB+3], 0, offen offset:4 // load one buffer value
/* g2l=4, load component 3 */
_buffer_load_d16_hi_b16 v73, v[vgprGlobalReadOffsetB+2], s[sgprSrdB:sgprSrdB+3], 0, offen offset:6 // load one buffer value
s_waitcnt vmcnt(0)
v_or_b32 v[vgprG2LB+4+1], v[vgprG2LB+4+1], v73 // HasEccHalf: pack
/* g2l=6, load component 0 */
_buffer_load_d16_b16 v[vgprG2LB+6+0], v[vgprGlobalReadOffsetB+3], s[sgprSrdB:sgprSrdB+3], 0, offen offset:0 // load one buffer value
/* g2l=6, load component 1 */
_buffer_load_d16_hi_b16 v73, v[vgprGlobalReadOffsetB+3], s[sgprSrdB:sgprSrdB+3], 0, offen offset:2 // load one buffer value
s_waitcnt vmcnt(0)
v_or_b32 v[vgprG2LB+6+0], v[vgprG2LB+6+0], v73 // HasEccHalf: pack
/* g2l=6, load component 2 */
_buffer_load_d16_b16 v[vgprG2LB+6+1], v[vgprGlobalReadOffsetB+3], s[sgprSrdB:sgprSrdB+3], 0, offen offset:4 // load one buffer value
/* g2l=6, load component 3 */
_buffer_load_d16_hi_b16 v73, v[vgprGlobalReadOffsetB+3], s[sgprSrdB:sgprSrdB+3], 0, offen offset:6 // load one buffer value
s_waitcnt vmcnt(0)
v_or_b32 v[vgprG2LB+6+1], v[vgprG2LB+6+1], v73 // HasEccHalf: pack
/* g2l=8, load component 0 */
_buffer_load_d16_b16 v[vgprG2LB+8+0], v[vgprGlobalReadOffsetB+4], s[sgprSrdB:sgprSrdB+3], 0, offen offset:0 // load one buffer value
/* g2l=8, load component 1 */
_buffer_load_d16_hi_b16 v73, v[vgprGlobalReadOffsetB+4], s[sgprSrdB:sgprSrdB+3], 0, offen offset:2 // load one buffer value
s_waitcnt vmcnt(0)
v_or_b32 v[vgprG2LB+8+0], v[vgprG2LB+8+0], v73 // HasEccHalf: pack
/* g2l=8, load component 2 */
_buffer_load_d16_b16 v[vgprG2LB+8+1], v[vgprGlobalReadOffsetB+4], s[sgprSrdB:sgprSrdB+3], 0, offen offset:4 // load one buffer value
/* g2l=8, load component 3 */
_buffer_load_d16_hi_b16 v73, v[vgprGlobalReadOffsetB+4], s[sgprSrdB:sgprSrdB+3], 0, offen offset:6 // load one buffer value
s_waitcnt vmcnt(0)
v_or_b32 v[vgprG2LB+8+1], v[vgprG2LB+8+1], v73 // HasEccHalf: pack
/* g2l=10, load component 0 */
_buffer_load_d16_b16 v[vgprG2LB+10+0], v[vgprGlobalReadOffsetB+5], s[sgprSrdB:sgprSrdB+3], 0, offen offset:0 // load one buffer value
/* g2l=10, load component 1 */
_buffer_load_d16_hi_b16 v73, v[vgprGlobalReadOffsetB+5], s[sgprSrdB:sgprSrdB+3], 0, offen offset:2 // load one buffer value
s_waitcnt vmcnt(0)
v_or_b32 v[vgprG2LB+10+0], v[vgprG2LB+10+0], v73 // HasEccHalf: pack
/* g2l=10, load component 2 */
_buffer_load_d16_b16 v[vgprG2LB+10+1], v[vgprGlobalReadOffsetB+5], s[sgprSrdB:sgprSrdB+3], 0, offen offset:4 // load one buffer value
/* g2l=10, load component 3 */
_buffer_load_d16_hi_b16 v73, v[vgprGlobalReadOffsetB+5], s[sgprSrdB:sgprSrdB+3], 0, offen offset:6 // load one buffer value
s_waitcnt vmcnt(0)
v_or_b32 v[vgprG2LB+10+1], v[vgprG2LB+10+1], v73 // HasEccHalf: pack
/* g2l=12, load component 0 */
_buffer_load_d16_b16 v[vgprG2LB+12+0], v[vgprGlobalReadOffsetB+6], s[sgprSrdB:sgprSrdB+3], 0, offen offset:0 // load one buffer value
/* g2l=12, load component 1 */
_buffer_load_d16_hi_b16 v73, v[vgprGlobalReadOffsetB+6], s[sgprSrdB:sgprSrdB+3], 0, offen offset:2 // load one buffer value
s_waitcnt vmcnt(0)
v_or_b32 v[vgprG2LB+12+0], v[vgprG2LB+12+0], v73 // HasEccHalf: pack
/* g2l=12, load component 2 */
_buffer_load_d16_b16 v[vgprG2LB+12+1], v[vgprGlobalReadOffsetB+6], s[sgprSrdB:sgprSrdB+3], 0, offen offset:4 // load one buffer value
/* g2l=12, load component 3 */
_buffer_load_d16_hi_b16 v73, v[vgprGlobalReadOffsetB+6], s[sgprSrdB:sgprSrdB+3], 0, offen offset:6 // load one buffer value
s_waitcnt vmcnt(0)
v_or_b32 v[vgprG2LB+12+1], v[vgprG2LB+12+1], v73 // HasEccHalf: pack
/* g2l=14, load component 0 */
_buffer_load_d16_b16 v[vgprG2LB+14+0], v[vgprGlobalReadOffsetB+7], s[sgprSrdB:sgprSrdB+3], 0, offen offset:0 // load one buffer value
/* g2l=14, load component 1 */
_buffer_load_d16_hi_b16 v73, v[vgprGlobalReadOffsetB+7], s[sgprSrdB:sgprSrdB+3], 0, offen offset:2 // load one buffer value
s_waitcnt vmcnt(0)
v_or_b32 v[vgprG2LB+14+0], v[vgprG2LB+14+0], v73 // HasEccHalf: pack
/* g2l=14, load component 2 */
_buffer_load_d16_b16 v[vgprG2LB+14+1], v[vgprGlobalReadOffsetB+7], s[sgprSrdB:sgprSrdB+3], 0, offen offset:4 // load one buffer value
/* g2l=14, load component 3 */
_buffer_load_d16_hi_b16 v73, v[vgprGlobalReadOffsetB+7], s[sgprSrdB:sgprSrdB+3], 0, offen offset:6 // load one buffer value
s_waitcnt vmcnt(0)
v_or_b32 v[vgprG2LB+14+1], v[vgprG2LB+14+1], v73 // HasEccHalf: pack

s_waitcnt vmcnt(0)                                 // lgkmcnt=-1 vmcnt=02wait for global read

s_waitcnt lgkmcnt(0) & vmcnt(0)                    // force waitcnt0
s_barrier //


/* Done global A/B reads */


	;; [unrolled: 1-line block ×4, first 2 shown]
/* local write a */

_ds_store_b16 v[vgprLocalWriteAddrA], v[vgprG2LA+0:vgprG2LA+0+0] offset:0 // lwoA_0_0_0_0 = (0 + 0*LSCA)*(MT0I+PAD) + (0*LSPA) = 0
_ds_store_b16_d16_hi v[vgprLocalWriteAddrA], v[vgprG2LA+0:vgprG2LA+0+0] offset:2 // lwoA_0_1_0_0 = (1 + 0*LSCA)*(MT0I+PAD) + (0*LSPA) = 2
_ds_store_b16 v[vgprLocalWriteAddrA], v[vgprG2LA+1:vgprG2LA+1+0] offset:128 // lwoA_0_2_0_0 = (2 + 0*LSCA)*(MT0I+PAD) + (0*LSPA) = 128
_ds_store_b16_d16_hi v[vgprLocalWriteAddrA], v[vgprG2LA+1:vgprG2LA+1+0] offset:130 // lwoA_0_3_0_0 = (3 + 0*LSCA)*(MT0I+PAD) + (0*LSPA) = 130
_ds_store_b16 v[vgprLocalWriteAddrA], v[vgprG2LA+2:vgprG2LA+2+0] offset:16 // lwoA_0_0_1_0 = (0 + 0*LSCA)*(MT0I+PAD) + (1*LSPA) = 16
_ds_store_b16_d16_hi v[vgprLocalWriteAddrA], v[vgprG2LA+2:vgprG2LA+2+0] offset:18 // lwoA_0_1_1_0 = (1 + 0*LSCA)*(MT0I+PAD) + (1*LSPA) = 18
_ds_store_b16 v[vgprLocalWriteAddrA], v[vgprG2LA+3:vgprG2LA+3+0] offset:144 // lwoA_0_2_1_0 = (2 + 0*LSCA)*(MT0I+PAD) + (1*LSPA) = 144
_ds_store_b16_d16_hi v[vgprLocalWriteAddrA], v[vgprG2LA+3:vgprG2LA+3+0] offset:146 // lwoA_0_3_1_0 = (3 + 0*LSCA)*(MT0I+PAD) + (1*LSPA) = 146
_ds_store_b16 v[vgprLocalWriteAddrA], v[vgprG2LA+4:vgprG2LA+4+0] offset:32 // lwoA_0_0_2_0 = (0 + 0*LSCA)*(MT0I+PAD) + (2*LSPA) = 32
_ds_store_b16_d16_hi v[vgprLocalWriteAddrA], v[vgprG2LA+4:vgprG2LA+4+0] offset:34 // lwoA_0_1_2_0 = (1 + 0*LSCA)*(MT0I+PAD) + (2*LSPA) = 34
_ds_store_b16 v[vgprLocalWriteAddrA], v[vgprG2LA+5:vgprG2LA+5+0] offset:160 // lwoA_0_2_2_0 = (2 + 0*LSCA)*(MT0I+PAD) + (2*LSPA) = 160
_ds_store_b16_d16_hi v[vgprLocalWriteAddrA], v[vgprG2LA+5:vgprG2LA+5+0] offset:162 // lwoA_0_3_2_0 = (3 + 0*LSCA)*(MT0I+PAD) + (2*LSPA) = 162
_ds_store_b16 v[vgprLocalWriteAddrA], v[vgprG2LA+6:vgprG2LA+6+0] offset:48 // lwoA_0_0_3_0 = (0 + 0*LSCA)*(MT0I+PAD) + (3*LSPA) = 48
_ds_store_b16_d16_hi v[vgprLocalWriteAddrA], v[vgprG2LA+6:vgprG2LA+6+0] offset:50 // lwoA_0_1_3_0 = (1 + 0*LSCA)*(MT0I+PAD) + (3*LSPA) = 50
_ds_store_b16 v[vgprLocalWriteAddrA], v[vgprG2LA+7:vgprG2LA+7+0] offset:176 // lwoA_0_2_3_0 = (2 + 0*LSCA)*(MT0I+PAD) + (3*LSPA) = 176
_ds_store_b16_d16_hi v[vgprLocalWriteAddrA], v[vgprG2LA+7:vgprG2LA+7+0] offset:178 // lwoA_0_3_3_0 = (3 + 0*LSCA)*(MT0I+PAD) + (3*LSPA) = 178


/* local write b */

_ds_store_b16 v[vgprLocalWriteAddrB], v[vgprG2LB+0:vgprG2LB+0+0] offset:0 // lwoB_0_0_0_0 = (0 + 0*LSCB) + (0*LSPB)(*MT1J+PAD) = 0
_ds_store_b16_d16_hi v[vgprLocalWriteAddrB], v[vgprG2LB+0:vgprG2LB+0+0] offset:128 // lwoB_0_0_0_1 = (0 + 0*LSCB) + (0*LSPB)(*MT1J+PAD) = 128
_ds_store_b16 v[vgprLocalWriteAddrB], v[vgprG2LB+1:vgprG2LB+1+0] offset:4 // lwoB_0_0_0_2 = (0 + 0*LSCB) + (0*LSPB)(*MT1J+PAD) = 4
_ds_store_b16_d16_hi v[vgprLocalWriteAddrB], v[vgprG2LB+1:vgprG2LB+1+0] offset:132 // lwoB_0_0_0_3 = (0 + 0*LSCB) + (0*LSPB)(*MT1J+PAD) = 132
_ds_store_b16 v[vgprLocalWriteAddrB], v[vgprG2LB+2:vgprG2LB+2+0] offset:1024 // lwoB_0_0_1_0 = (0 + 0*LSCB) + (1*LSPB)(*MT1J+PAD) = 1024
_ds_store_b16_d16_hi v[vgprLocalWriteAddrB], v[vgprG2LB+2:vgprG2LB+2+0] offset:1152 // lwoB_0_0_1_1 = (0 + 0*LSCB) + (1*LSPB)(*MT1J+PAD) = 1152
_ds_store_b16 v[vgprLocalWriteAddrB], v[vgprG2LB+3:vgprG2LB+3+0] offset:1028 // lwoB_0_0_1_2 = (0 + 0*LSCB) + (1*LSPB)(*MT1J+PAD) = 1028
_ds_store_b16_d16_hi v[vgprLocalWriteAddrB], v[vgprG2LB+3:vgprG2LB+3+0] offset:1156 // lwoB_0_0_1_3 = (0 + 0*LSCB) + (1*LSPB)(*MT1J+PAD) = 1156
_ds_store_b16 v[vgprLocalWriteAddrB], v[vgprG2LB+4:vgprG2LB+4+0] offset:2048 // lwoB_0_0_2_0 = (0 + 0*LSCB) + (2*LSPB)(*MT1J+PAD) = 2048
_ds_store_b16_d16_hi v[vgprLocalWriteAddrB], v[vgprG2LB+4:vgprG2LB+4+0] offset:2176 // lwoB_0_0_2_1 = (0 + 0*LSCB) + (2*LSPB)(*MT1J+PAD) = 2176
_ds_store_b16 v[vgprLocalWriteAddrB], v[vgprG2LB+5:vgprG2LB+5+0] offset:2052 // lwoB_0_0_2_2 = (0 + 0*LSCB) + (2*LSPB)(*MT1J+PAD) = 2052
_ds_store_b16_d16_hi v[vgprLocalWriteAddrB], v[vgprG2LB+5:vgprG2LB+5+0] offset:2180 // lwoB_0_0_2_3 = (0 + 0*LSCB) + (2*LSPB)(*MT1J+PAD) = 2180
_ds_store_b16 v[vgprLocalWriteAddrB], v[vgprG2LB+6:vgprG2LB+6+0] offset:3072 // lwoB_0_0_3_0 = (0 + 0*LSCB) + (3*LSPB)(*MT1J+PAD) = 3072
_ds_store_b16_d16_hi v[vgprLocalWriteAddrB], v[vgprG2LB+6:vgprG2LB+6+0] offset:3200 // lwoB_0_0_3_1 = (0 + 0*LSCB) + (3*LSPB)(*MT1J+PAD) = 3200
_ds_store_b16 v[vgprLocalWriteAddrB], v[vgprG2LB+7:vgprG2LB+7+0] offset:3076 // lwoB_0_0_3_2 = (0 + 0*LSCB) + (3*LSPB)(*MT1J+PAD) = 3076
_ds_store_b16_d16_hi v[vgprLocalWriteAddrB], v[vgprG2LB+7:vgprG2LB+7+0] offset:3204 // lwoB_0_0_3_3 = (0 + 0*LSCB) + (3*LSPB)(*MT1J+PAD) = 3204
_ds_store_b16 v[vgprLocalWriteAddrB], v[vgprG2LB+8:vgprG2LB+8+0] offset:4096 // lwoB_0_0_4_0 = (0 + 0*LSCB) + (4*LSPB)(*MT1J+PAD) = 4096
_ds_store_b16_d16_hi v[vgprLocalWriteAddrB], v[vgprG2LB+8:vgprG2LB+8+0] offset:4224 // lwoB_0_0_4_1 = (0 + 0*LSCB) + (4*LSPB)(*MT1J+PAD) = 4224
_ds_store_b16 v[vgprLocalWriteAddrB], v[vgprG2LB+9:vgprG2LB+9+0] offset:4100 // lwoB_0_0_4_2 = (0 + 0*LSCB) + (4*LSPB)(*MT1J+PAD) = 4100
_ds_store_b16_d16_hi v[vgprLocalWriteAddrB], v[vgprG2LB+9:vgprG2LB+9+0] offset:4228 // lwoB_0_0_4_3 = (0 + 0*LSCB) + (4*LSPB)(*MT1J+PAD) = 4228
_ds_store_b16 v[vgprLocalWriteAddrB], v[vgprG2LB+10:vgprG2LB+10+0] offset:5120 // lwoB_0_0_5_0 = (0 + 0*LSCB) + (5*LSPB)(*MT1J+PAD) = 5120
_ds_store_b16_d16_hi v[vgprLocalWriteAddrB], v[vgprG2LB+10:vgprG2LB+10+0] offset:5248 // lwoB_0_0_5_1 = (0 + 0*LSCB) + (5*LSPB)(*MT1J+PAD) = 5248
_ds_store_b16 v[vgprLocalWriteAddrB], v[vgprG2LB+11:vgprG2LB+11+0] offset:5124 // lwoB_0_0_5_2 = (0 + 0*LSCB) + (5*LSPB)(*MT1J+PAD) = 5124
_ds_store_b16_d16_hi v[vgprLocalWriteAddrB], v[vgprG2LB+11:vgprG2LB+11+0] offset:5252 // lwoB_0_0_5_3 = (0 + 0*LSCB) + (5*LSPB)(*MT1J+PAD) = 5252
_ds_store_b16 v[vgprLocalWriteAddrB], v[vgprG2LB+12:vgprG2LB+12+0] offset:6144 // lwoB_0_0_6_0 = (0 + 0*LSCB) + (6*LSPB)(*MT1J+PAD) = 6144
_ds_store_b16_d16_hi v[vgprLocalWriteAddrB], v[vgprG2LB+12:vgprG2LB+12+0] offset:6272 // lwoB_0_0_6_1 = (0 + 0*LSCB) + (6*LSPB)(*MT1J+PAD) = 6272
_ds_store_b16 v[vgprLocalWriteAddrB], v[vgprG2LB+13:vgprG2LB+13+0] offset:6148 // lwoB_0_0_6_2 = (0 + 0*LSCB) + (6*LSPB)(*MT1J+PAD) = 6148
_ds_store_b16_d16_hi v[vgprLocalWriteAddrB], v[vgprG2LB+13:vgprG2LB+13+0] offset:6276 // lwoB_0_0_6_3 = (0 + 0*LSCB) + (6*LSPB)(*MT1J+PAD) = 6276
_ds_store_b16 v[vgprLocalWriteAddrB], v[vgprG2LB+14:vgprG2LB+14+0] offset:7168 // lwoB_0_0_7_0 = (0 + 0*LSCB) + (7*LSPB)(*MT1J+PAD) = 7168
_ds_store_b16_d16_hi v[vgprLocalWriteAddrB], v[vgprG2LB+14:vgprG2LB+14+0] offset:7296 // lwoB_0_0_7_1 = (0 + 0*LSCB) + (7*LSPB)(*MT1J+PAD) = 7296
_ds_store_b16 v[vgprLocalWriteAddrB], v[vgprG2LB+15:vgprG2LB+15+0] offset:7172 // lwoB_0_0_7_2 = (0 + 0*LSCB) + (7*LSPB)(*MT1J+PAD) = 7172
_ds_store_b16_d16_hi v[vgprLocalWriteAddrB], v[vgprG2LB+15:vgprG2LB+15+0] offset:7300 // lwoB_0_0_7_3 = (0 + 0*LSCB) + (7*LSPB)(*MT1J+PAD) = 7300


/* Recalc local read offsets */


s_waitcnt lgkmcnt(0)                               // lgkmcnt=0 vmcnt=-15wait for local write

s_waitcnt lgkmcnt(0) & vmcnt(0)                    // force waitcnt0
s_barrier //


/* local read reset offsets a */


/* localReadResetOffsets */
/* handled internally */
v_and_b32 v[vgprLocalReadAddrA], 0x3fff, v[vgprLocalReadAddrA] // reset Red,Blk -> Red


/* local read reset offsets b */


/* localReadResetOffsets */
/* handled internally */
v_and_b32 v[vgprLocalReadAddrB], 0x3fff, v[vgprLocalReadAddrB] // reset Red,Blk -> Red


/* local read init pointers a */


/* localReadInitPointers */


/* local read init pointers b */


/* localReadInitPointers */


/* tail loop: macs */

TailLoopBeginL_6:


/* local read a */

_ds_load_b64 v[vgprValuA_X0_I0+0:vgprValuA_X0_I0+0+1], v[vgprLocalReadAddrA] offset:0 // L -> Reg lro=0 swapByteOffset=0 ti=8 vIdx=0 rIdx=0 oIdx=0 buffer=0 iui=0


/* local read b */

_ds_load_b64 v[vgprValuB_X0_I0+0:vgprValuB_X0_I0+0+1], v[vgprLocalReadAddrB] offset:0 // L -> Reg lro=0 swapByteOffset=0 ti=16 vIdx=0 rIdx=0 oIdx=0 buffer=0 iui=0


/* local read inc a */

s_mov_b32 s38, 0x40                                // inc
_v_add_co_u32 v[vgprLocalReadAddrA], vcc, s38, v[vgprLocalReadAddrA] // lrA += 64 (LSU*(MT+PAD)*bpe)


/* local read inc b */

s_mov_b32 s38, 0x80                                // inc
_v_add_co_u32 v[vgprLocalReadAddrB], vcc, s38, v[vgprLocalReadAddrB] // lrB += 128 (LSU*(MT+PAD)*bpe)


/* local read a */

_ds_load_b64 v[vgprValuA_X0_I1+0:vgprValuA_X0_I1+0+1], v[vgprLocalReadAddrA] offset:0 // L -> Reg lro=0 swapByteOffset=0 ti=8 vIdx=0 rIdx=0 oIdx=0 buffer=0 iui=1


/* local read b */

_ds_load_b64 v[vgprValuB_X0_I1+0:vgprValuB_X0_I1+0+1], v[vgprLocalReadAddrB] offset:0 // L -> Reg lro=0 swapByteOffset=0 ti=16 vIdx=0 rIdx=0 oIdx=0 buffer=0 iui=1


/* local read inc a */

s_mov_b32 s38, 0x40                                // inc
_v_add_co_u32 v[vgprLocalReadAddrA], vcc, s38, v[vgprLocalReadAddrA] // lrA += 64 (LSU*(MT+PAD)*bpe)


/* local read inc b */

s_mov_b32 s38, 0x80                                // inc
_v_add_co_u32 v[vgprLocalReadAddrB], vcc, s38, v[vgprLocalReadAddrB] // lrB += 128 (LSU*(MT+PAD)*bpe)

s_waitcnt lgkmcnt(0)                               // lgkmcnt=0 vmcnt=-14wait for local read

.align32 8, 0xbf800001                             // align v_pk_fma
MAC_4x4_X0

/* closeLoop loopL finalLoop=1 tailLoop=1 */
s_sub_i32 s[sgprLoopCounterL], s[sgprLoopCounterL], 0x2 // dec counterL (tailLoop)
s_add_u32 s[sgprOrigLoopCounter], s[sgprOrigLoopCounter], 0x2 // inc counterL
s_cmp_le_i32 s[sgprLoopCounterL], 0x0              // counterL<=0
s_cbranch_scc0 TailLoopBeginL_6                    // restart LoopL
TailLoopEndL_7:

SkipTailLoopL_8:

Summation_End_30:
/* endSummation: add vgpr [16...70) to pool */


/* shift vector components d1 */

v_mov_b32 v17, s[sgprWorkGroup1]                   // 
v_mul_i32_i24 v17, -0x40, v17                      // wg*MT
_v_add_co_u32 v17, vcc, s[sgprSizesFree+1], v17    // wgMT = Size - wg*MT
v_mov_b32 v16, 0x40                                // MT
v_min_u32 v17, v16, v17                            // wgMT = (wgMT < MT) ? wgMT : MT
v_lshrrev_b32 v16, 2, v17                          // v16 = v17 / 4
v_and_b32 v18, 3, v17                              // v18 = v17 % 4
v_and_b32 v19, 15, v16                             // v19 = v16 % 16
v_lshrrev_b32 v20, 3, v[vgprSerial]                // v20 = v[vgprSerial] / 8
v_and_b32 v21, 15, v20                             // v21 = v20 % 16
v_lshrrev_b32 v20, 6, v17                          // v20 = v17 / 64
v_and_b32 v22, 3, v17                              // v22 = v17 % 4
v_mov_b32 v23, v22                                 // duplicate
v_lshrrev_b32 v22, 2, v23                          // v22 = v23 / 4
_v_add_co_u32 v22, vcc, v20, v22                   // vId = 2 components
v_cmp_eq_u32 vcc, v18, 0x1                         // wgMT%VW == 1
s_cbranch_vccnz label_0031                         // shift d1 r=1
v_cmp_eq_u32 vcc, v18, 0x2                         // wgMT%VW == 2
s_cbranch_vccnz label_0033                         // shift d1 r=2
v_cmp_eq_u32 vcc, v18, 0x3                         // wgMT%VW == 3
s_cbranch_vccnz label_0035                         // shift d1 r=3
s_branch label_0037                                // no shifting

/******************************************/
/* shift d1 r=1                           */
/******************************************/
label_0031:
v_cmp_eq_u32 vcc, v22, 0x0                         // wgMT/(SG*VW) == 0
s_cbranch_vccnz label_0032                         // shift d1, r=1, v=0

/* shift d1 r=1 v=0 */
label_0032:
_v_cmpx_eq_u32 s[38:39], v21, v19                  // serial % SG == (wgMT/VECTOR_WIDTH)%SG
// src=12, dst=0
v_mov_b32 v0, v12                                  // rC[0+0*TT0I*VW+0*TT0I] = rC[0+0*TT0I*VW+3*TT0I]
// src=13, dst=1
v_mov_b32 v1, v13                                  // rC[1+0*TT0I*VW+0*TT0I] = rC[1+0*TT0I*VW+3*TT0I]
	;; [unrolled: 2-line block ×4, first 2 shown]
s_mov_b64 s[38:39], 0xFFFFFFFFFFFFFFFF             // to restore all threads active
s_or_saveexec_b64 vcc, s[38:39]                    // all threads active
s_branch label_0037                                // done shifting

/******************************************/
/* shift d1 r=2                           */
/******************************************/
label_0033:
v_cmp_eq_u32 vcc, v22, 0x0                         // wgMT/(SG*VW) == 0
s_cbranch_vccnz label_0034                         // shift d1, r=2, v=0

/* shift d1 r=2 v=0 */
label_0034:
_v_cmpx_eq_u32 s[38:39], v21, v19                  // serial % SG == (wgMT/VECTOR_WIDTH)%SG
// src=8, dst=0
v_mov_b32 v0, v8                                   // rC[0+0*TT0I*VW+0*TT0I] = rC[0+0*TT0I*VW+2*TT0I]
// src=12, dst=4
v_mov_b32 v4, v12                                  // rC[0+0*TT0I*VW+1*TT0I] = rC[0+0*TT0I*VW+3*TT0I]
// src=9, dst=1
v_mov_b32 v1, v9                                   // rC[1+0*TT0I*VW+0*TT0I] = rC[1+0*TT0I*VW+2*TT0I]
// src=13, dst=5
v_mov_b32 v5, v13                                  // rC[1+0*TT0I*VW+1*TT0I] = rC[1+0*TT0I*VW+3*TT0I]
// src=10, dst=2
v_mov_b32 v2, v10                                  // rC[2+0*TT0I*VW+0*TT0I] = rC[2+0*TT0I*VW+2*TT0I]
	;; [unrolled: 2-line block ×5, first 2 shown]
s_mov_b64 s[38:39], 0xFFFFFFFFFFFFFFFF             // to restore all threads active
s_or_saveexec_b64 vcc, s[38:39]                    // all threads active
s_branch label_0037                                // done shifting

/******************************************/
/* shift d1 r=3                           */
/******************************************/
label_0035:
v_cmp_eq_u32 vcc, v22, 0x0                         // wgMT/(SG*VW) == 0
s_cbranch_vccnz label_0036                         // shift d1, r=3, v=0

/* shift d1 r=3 v=0 */
label_0036:
_v_cmpx_eq_u32 s[38:39], v21, v19                  // serial % SG == (wgMT/VECTOR_WIDTH)%SG
// src=4, dst=0
v_mov_b32 v0, v4                                   // rC[0+0*TT0I*VW+0*TT0I] = rC[0+0*TT0I*VW+1*TT0I]
// src=8, dst=4
v_mov_b32 v4, v8                                   // rC[0+0*TT0I*VW+1*TT0I] = rC[0+0*TT0I*VW+2*TT0I]
// src=12, dst=8
v_mov_b32 v8, v12                                  // rC[0+0*TT0I*VW+2*TT0I] = rC[0+0*TT0I*VW+3*TT0I]
// src=5, dst=1
v_mov_b32 v1, v5                                   // rC[1+0*TT0I*VW+0*TT0I] = rC[1+0*TT0I*VW+1*TT0I]
// src=9, dst=5
v_mov_b32 v5, v9                                   // rC[1+0*TT0I*VW+1*TT0I] = rC[1+0*TT0I*VW+2*TT0I]
// src=13, dst=9
v_mov_b32 v9, v13                                  // rC[1+0*TT0I*VW+2*TT0I] = rC[1+0*TT0I*VW+3*TT0I]
// src=6, dst=2
v_mov_b32 v2, v6                                   // rC[2+0*TT0I*VW+0*TT0I] = rC[2+0*TT0I*VW+1*TT0I]
// src=10, dst=6
v_mov_b32 v6, v10                                  // rC[2+0*TT0I*VW+1*TT0I] = rC[2+0*TT0I*VW+2*TT0I]
// src=14, dst=10
v_mov_b32 v10, v14                                 // rC[2+0*TT0I*VW+2*TT0I] = rC[2+0*TT0I*VW+3*TT0I]
// src=7, dst=3
v_mov_b32 v3, v7                                   // rC[3+0*TT0I*VW+0*TT0I] = rC[3+0*TT0I*VW+1*TT0I]
// src=11, dst=7
v_mov_b32 v7, v11                                  // rC[3+0*TT0I*VW+1*TT0I] = rC[3+0*TT0I*VW+2*TT0I]
// src=15, dst=11
v_mov_b32 v11, v15                                 // rC[3+0*TT0I*VW+2*TT0I] = rC[3+0*TT0I*VW+3*TT0I]
s_mov_b64 s[38:39], 0xFFFFFFFFFFFFFFFF             // to restore all threads active
s_or_saveexec_b64 vcc, s[38:39]                    // all threads active
s_branch label_0037                                // done shifting
label_0037: // end shift0


	;; [unrolled: 1-line block ×3, first 2 shown]
/* not-LocalSplitU: global write indices */

/* computeStoreVgprs */
v_lshrrev_b32 v17, 3, v[vgprSerial]                // v17 = v[vgprSerial] / 8
v_and_b32 v16, 7, v[vgprSerial]                    // v16 = v[vgprSerial] % 8
v_lshlrev_b32 v16, 0x2, v16                        // v16 = v16 * 4
v_lshlrev_b32 v17, 0x2, v17                        // v17 = v17 * 4
v_mul_lo_u32 v18, v17, s[sgprStrideC1J]            // rowStart vgpr
v_mul_lo_u32 v19, v17, s[sgprStrideD1J]            // rowStart vgpr

s_mul_i32 s38, 0x20, s[sgprWorkGroup0]             // s38 = wg0*MT0
_v_add_co_u32 v16, vcc, s38, v16                   // coord0 = tid0*VW + wg0*MT0
s_mul_i32 s40, 0x40, s[sgprWorkGroup1]             // <- wg1*MT1
_v_add_co_u32 v17, vcc, s40, v17                   // coord1 = tid1*VW + wg1*MT1


/* not-LocalSplitU: global write */

s_cmpk_eq_u32 s[sgprBeta], 0x0                     // Beta == 0
s_cbranch_scc0 GW_Beta_53                          // Branch if Beta is not zero

s_and_b32 s38, 31, s[sgprSizeI]                    // s38 = s[sgprSizeI] % 32
s_add_u32 s39, -0x1, s[sgprNumWorkGroups0]         // 
s_cmp_ge_u32 s[sgprWorkGroup0], s39                // wg0 >= nwg0-1 ?
s_cselect_b32 s38, s38, 0                          // set rMT0
s_cmpk_gt_u32 s38, 0x0                             // rMT0 > 0
s_cbranch_scc1 GW_B0_E1_44                         // jump if edges required
s_and_b32 s38, 63, s[sgprSizeJ]                    // s38 = s[sgprSizeJ] % 64
s_add_u32 s39, -0x1, s[sgprNumWorkGroups1]         // 
s_cmp_ge_u32 s[sgprWorkGroup1], s39                // wg1 >= nwg1-1
s_cselect_b32 s38, s38, 0                          // set rMT1
s_cmpk_gt_u32 s38, 0x0                             // rMT1 > 0
s_cbranch_scc1 GW_B0_E1_44                         // jump if edges required
GW_B0_E0_41:

/* edge=0, allocate 2 sgpr. perBatchTmpS=2 perBatchMaskS=0 perElementMaskS=0 elementsPerBatch=4 */
/* optSingleColVgpr=1 optSharedColVgpr=0 optSGPRUsage=BufferLoad_Mask optSrdIncForRow=1 */

/******************************************/
/* Global Write Alpha Batch #0 (d1,d0,vc1,vc0) = */
/*    (0,0,0,0:vw4); (0,0,1,0:vw4); (0,0,2,0:vw4); (0,0,3,0:vw4) */
/******************************************/

/* calc coords, apply mask, and issue loads (if necessary) */
/* (d1,vc1,d0,vc0)=(0,0,0,0) */
/* (d1,vc1,d0,vc0)=(0,1,0,0) */
/* (d1,vc1,d0,vc0)=(0,2,0,0) */
/* (d1,vc1,d0,vc0)=(0,3,0,0) */
_v_add_lshl_u32 v22, v19, v16, 0x1                 // optSingleColVgpr scaleToBpe: sharedAddrVgpr <- cinRowPtr + coord0, scaled by BPE. BSHERE:coord0=16, coord0Vgpr=16

/* rC *= alpha batchElements=[(0, 0, 0, 0), (0, 0, 1, 0), (0, 0, 2, 0), (0, 0, 3, 0)] */
v_mul_f32 v[vgprValuC+0], s[sgprAlpha], v[vgprValuC+0] // *= alpha
v_mul_f32 v[vgprValuC+1], s[sgprAlpha], v[vgprValuC+1] // *= alpha
	;; [unrolled: 1-line block ×16, first 2 shown]

/* apply mask, calc new C and issue writes */
v_cvt_f16_f32 v[vgprValuC+0], v[vgprValuC+0]       // convert C to fp16
v_cvt_f16_f32 v[vgprValuC+1], v[vgprValuC+1]       // convert C to fp16
v_pack_b32_f16 v0, v[vgprValuC+0], v[vgprValuC+1]  // Pack with neighbor
v_cvt_f16_f32 v[vgprValuC+2], v[vgprValuC+2]       // convert C to fp16
v_cvt_f16_f32 v[vgprValuC+3], v[vgprValuC+3]       // convert C to fp16
v_pack_b32_f16 v1, v[vgprValuC+2], v[vgprValuC+3]  // Pack with neighbor
_buffer_store_b64 v[0:1], v22, s[sgprSrdD:sgprSrdD+3], 0, offen, offset:0 // store D
v_cvt_f16_f32 v[vgprValuC+4], v[vgprValuC+4]       // convert C to fp16
v_cvt_f16_f32 v[vgprValuC+5], v[vgprValuC+5]       // convert C to fp16
v_pack_b32_f16 v4, v[vgprValuC+4], v[vgprValuC+5]  // Pack with neighbor
v_cvt_f16_f32 v[vgprValuC+6], v[vgprValuC+6]       // convert C to fp16
v_cvt_f16_f32 v[vgprValuC+7], v[vgprValuC+7]       // convert C to fp16
v_pack_b32_f16 v5, v[vgprValuC+6], v[vgprValuC+7]  // Pack with neighbor
s_lshl_b32  s38, s[sgprStrideD1J], 1               // incToNextRow: Scale by BPE
s_add_u32  s[sgprSrdD+0], s[sgprSrdD+0], s38       // incToNextRow: gra SRD += inc(lower)
s_addc_u32  s[sgprSrdD+1], s[sgprSrdD+1], 0        // incToNextRow: gra SRD += inc(upper)
_buffer_store_b64 v[4:5], v22, s[sgprSrdD:sgprSrdD+3], 0, offen, offset:0 // store D
v_cvt_f16_f32 v[vgprValuC+8], v[vgprValuC+8]       // convert C to fp16
v_cvt_f16_f32 v[vgprValuC+9], v[vgprValuC+9]       // convert C to fp16
v_pack_b32_f16 v8, v[vgprValuC+8], v[vgprValuC+9]  // Pack with neighbor
v_cvt_f16_f32 v[vgprValuC+10], v[vgprValuC+10]     // convert C to fp16
v_cvt_f16_f32 v[vgprValuC+11], v[vgprValuC+11]     // convert C to fp16
v_pack_b32_f16 v9, v[vgprValuC+10], v[vgprValuC+11] // Pack with neighbor
s_lshl_b32  s38, s[sgprStrideD1J], 1               // incToNextRow: Scale by BPE
s_add_u32  s[sgprSrdD+0], s[sgprSrdD+0], s38       // incToNextRow: gra SRD += inc(lower)
s_addc_u32  s[sgprSrdD+1], s[sgprSrdD+1], 0        // incToNextRow: gra SRD += inc(upper)
_buffer_store_b64 v[8:9], v22, s[sgprSrdD:sgprSrdD+3], 0, offen, offset:0 // store D
v_cvt_f16_f32 v[vgprValuC+12], v[vgprValuC+12]     // convert C to fp16
v_cvt_f16_f32 v[vgprValuC+13], v[vgprValuC+13]     // convert C to fp16
v_pack_b32_f16 v12, v[vgprValuC+12], v[vgprValuC+13] // Pack with neighbor
v_cvt_f16_f32 v[vgprValuC+14], v[vgprValuC+14]     // convert C to fp16
v_cvt_f16_f32 v[vgprValuC+15], v[vgprValuC+15]     // convert C to fp16
v_pack_b32_f16 v13, v[vgprValuC+14], v[vgprValuC+15] // Pack with neighbor
s_lshl_b32  s38, s[sgprStrideD1J], 1               // incToNextRow: Scale by BPE
s_add_u32  s[sgprSrdD+0], s[sgprSrdD+0], s38       // incToNextRow: gra SRD += inc(lower)
s_addc_u32  s[sgprSrdD+1], s[sgprSrdD+1], 0        // incToNextRow: gra SRD += inc(upper)
_buffer_store_b64 v[12:13], v22, s[sgprSrdD:sgprSrdD+3], 0, offen, offset:0 // store D
s_branch label_GW_End_52                           // jump to end
GW_B0_E1_44:

/* edge=1, allocate 6 sgpr. perBatchTmpS=4 perBatchMaskS=2 perElementMaskS=0 elementsPerBatch=48 */
/* optSingleColVgpr=0 optSharedColVgpr=0 optSGPRUsage=BufferLoad_Edge_Mask optSrdIncForRow=0 */

/******************************************/
/* Global Write Alpha Edge Batch #0 (d1,d0,vc1,vc0) = */
/*    (0,0,0,0:vw2); (0,0,0,2:vw2); (0,0,1,0:vw2); (0,0,1,2:vw2); (0,0,2,0:vw2); (0,0,2,2:vw2); (0,0,3,0:vw2); (0,0,3,2:vw2) */
/******************************************/

/* calc coords, apply mask, and issue loads (if necessary) */
/* (d1,vc1,d0,vc0)=(0,0,0,0) */
v_cmp_lt_u32 s[38:39], v16, s[sgprSizeI]           // coord0 < size0
v_cmp_lt_u32 s[42:43], v17, s[sgprSizeJ]           // coord1 < size1
s_and_b64 s[42:43], s[38:39], s[42:43]             // in0 && in1
_v_add_lshl_u32 v22, v19, v16, 0x1                 // scaleToBpe: accumulate d0 lower and *= bpe into Cin addr
v_cndmask_b32 v22, -1, v22, s[42:43]               // LDD clip if OOB. offset
/* (d1,vc1,d0,vc0)=(0,0,0,2) */
_v_add_co_u32 v20, vcc, v16, 2                     // coord0.1: coord0 += d0*sg0*VW + vc0
v_cmp_lt_u32 s[38:39], v20, s[sgprSizeI]           // coord0 < size0
v_cmp_lt_u32 s[42:43], v17, s[sgprSizeJ]           // coord1 < size1
s_and_b64 s[42:43], s[38:39], s[42:43]             // in0 && in1
_v_add_lshl_u32 v23, v19, v20, 0x1                 // scaleToBpe: accumulate d0 lower and *= bpe into Cin addr
v_cndmask_b32 v23, -1, v23, s[42:43]               // LDD clip if OOB. offset
/* (d1,vc1,d0,vc0)=(0,1,0,0) */
_v_add_co_u32 v17, vcc, v17, 1                     // coord1.1: coord1Vgpr += d1*sg1*VW + vc1

/* Fix for UseInitialStridesCD, emitAddressSetupCode */
_v_add_u32 v18, v18, s[sgprStrideC1J]              // ROWINC- Move cinRowPtr to next row
_v_add_u32 v19, v19, s[sgprStrideD1J]              // Move coutRowPtr to next row
v_cmp_lt_u32 s[38:39], v16, s[sgprSizeI]           // coord0 < size0
v_cmp_lt_u32 s[42:43], v17, s[sgprSizeJ]           // coord1 < size1
s_and_b64 s[42:43], s[38:39], s[42:43]             // in0 && in1
_v_add_lshl_u32 v24, v19, v16, 0x1                 // scaleToBpe: accumulate d0 lower and *= bpe into Cin addr
v_cndmask_b32 v24, -1, v24, s[42:43]               // LDD clip if OOB. offset
/* (d1,vc1,d0,vc0)=(0,1,0,2) */
_v_add_co_u32 v20, vcc, v16, 2                     // coord0.1: coord0 += d0*sg0*VW + vc0
v_cmp_lt_u32 s[38:39], v20, s[sgprSizeI]           // coord0 < size0
v_cmp_lt_u32 s[42:43], v17, s[sgprSizeJ]           // coord1 < size1
s_and_b64 s[42:43], s[38:39], s[42:43]             // in0 && in1
_v_add_lshl_u32 v25, v19, v20, 0x1                 // scaleToBpe: accumulate d0 lower and *= bpe into Cin addr
v_cndmask_b32 v25, -1, v25, s[42:43]               // LDD clip if OOB. offset
/* (d1,vc1,d0,vc0)=(0,2,0,0) */
_v_add_co_u32 v17, vcc, v17, 1                     // coord1.1: coord1Vgpr += d1*sg1*VW + vc1

/* Fix for UseInitialStridesCD, emitAddressSetupCode */
_v_add_u32 v18, v18, s[sgprStrideC1J]              // ROWINC- Move cinRowPtr to next row
_v_add_u32 v19, v19, s[sgprStrideD1J]              // Move coutRowPtr to next row
	;; [unrolled: 18-line block ×3, first 2 shown]
v_cmp_lt_u32 s[38:39], v16, s[sgprSizeI]           // coord0 < size0
v_cmp_lt_u32 s[42:43], v17, s[sgprSizeJ]           // coord1 < size1
s_and_b64 s[42:43], s[38:39], s[42:43]             // in0 && in1
_v_add_lshl_u32 v28, v19, v16, 0x1                 // scaleToBpe: accumulate d0 lower and *= bpe into Cin addr
v_cndmask_b32 v28, -1, v28, s[42:43]               // LDD clip if OOB. offset
/* (d1,vc1,d0,vc0)=(0,3,0,2) */
_v_add_co_u32 v20, vcc, v16, 2                     // coord0.1: coord0 += d0*sg0*VW + vc0
v_cmp_lt_u32 s[38:39], v20, s[sgprSizeI]           // coord0 < size0
v_cmp_lt_u32 s[42:43], v17, s[sgprSizeJ]           // coord1 < size1
s_and_b64 s[42:43], s[38:39], s[42:43]             // in0 && in1
_v_add_lshl_u32 v29, v19, v20, 0x1                 // scaleToBpe: accumulate d0 lower and *= bpe into Cin addr
v_cndmask_b32 v29, -1, v29, s[42:43]               // LDD clip if OOB. offset

/* rC *= alpha batchElements=[(0, 0, 0, 0), (0, 0, 0, 2), (0, 0, 1, 0), (0, 0, 1, 2), (0, 0, 2, 0), (0, 0, 2, 2), (0, 0, 3, 0), (0, 0, 3, 2)] */
v_mul_f32 v[vgprValuC+0], s[sgprAlpha], v[vgprValuC+0] // *= alpha
v_mul_f32 v[vgprValuC+1], s[sgprAlpha], v[vgprValuC+1] // *= alpha
	;; [unrolled: 1-line block ×16, first 2 shown]

/* apply mask, calc new C and issue writes */
v_cvt_f16_f32 v[vgprValuC+0], v[vgprValuC+0]       // convert C to fp16
v_cvt_f16_f32 v[vgprValuC+1], v[vgprValuC+1]       // convert C to fp16
v_pack_b32_f16 v0, v[vgprValuC+0], v[vgprValuC+1]  // Pack with neighbor
_buffer_store_b32 v0, v22, s[sgprSrdD:sgprSrdD+3], 0, offen, offset:0 // store D
v_cvt_f16_f32 v[vgprValuC+2], v[vgprValuC+2]       // convert C to fp16
v_cvt_f16_f32 v[vgprValuC+3], v[vgprValuC+3]       // convert C to fp16
v_pack_b32_f16 v2, v[vgprValuC+2], v[vgprValuC+3]  // Pack with neighbor
_buffer_store_b32 v2, v23, s[sgprSrdD:sgprSrdD+3], 0, offen, offset:0 // store D
	;; [unrolled: 4-line block ×5, first 2 shown]
v_cvt_f16_f32 v[vgprValuC+10], v[vgprValuC+10]     // convert C to fp16
v_cvt_f16_f32 v[vgprValuC+11], v[vgprValuC+11]     // convert C to fp16
v_pack_b32_f16 v10, v[vgprValuC+10], v[vgprValuC+11] // Pack with neighbor
_buffer_store_b32 v10, v27, s[sgprSrdD:sgprSrdD+3], 0, offen, offset:0 // store D
v_cvt_f16_f32 v[vgprValuC+12], v[vgprValuC+12]     // convert C to fp16
v_cvt_f16_f32 v[vgprValuC+13], v[vgprValuC+13]     // convert C to fp16
v_pack_b32_f16 v12, v[vgprValuC+12], v[vgprValuC+13] // Pack with neighbor
_buffer_store_b32 v12, v28, s[sgprSrdD:sgprSrdD+3], 0, offen, offset:0 // store D
v_cvt_f16_f32 v[vgprValuC+14], v[vgprValuC+14]     // convert C to fp16
v_cvt_f16_f32 v[vgprValuC+15], v[vgprValuC+15]     // convert C to fp16
v_pack_b32_f16 v14, v[vgprValuC+14], v[vgprValuC+15] // Pack with neighbor
_buffer_store_b32 v14, v29, s[sgprSrdD:sgprSrdD+3], 0, offen, offset:0 // store D
s_branch label_GW_End_52                           // jump to end
GW_Beta_53:
s_and_b32 s38, 31, s[sgprSizeI]                    // s38 = s[sgprSizeI] % 32
s_add_u32 s39, -0x1, s[sgprNumWorkGroups0]         // 
s_cmp_ge_u32 s[sgprWorkGroup0], s39                // wg0 >= nwg0-1 ?
s_cselect_b32 s38, s38, 0                          // set rMT0
s_cmpk_gt_u32 s38, 0x0                             // rMT0 > 0
s_cbranch_scc1 GW_B1_E1_51                         // jump if edges required
s_and_b32 s38, 63, s[sgprSizeJ]                    // s38 = s[sgprSizeJ] % 64
s_add_u32 s39, -0x1, s[sgprNumWorkGroups1]         // 
s_cmp_ge_u32 s[sgprWorkGroup1], s39                // wg1 >= nwg1-1
s_cselect_b32 s38, s38, 0                          // set rMT1
s_cmpk_gt_u32 s38, 0x0                             // rMT1 > 0
s_cbranch_scc1 GW_B1_E1_51                         // jump if edges required
GW_B1_E0_48:

/* edge=0, allocate 2 sgpr. perBatchTmpS=2 perBatchMaskS=0 perElementMaskS=0 elementsPerBatch=22 */
/* optSingleColVgpr=1 optSharedColVgpr=0 optSGPRUsage=BufferLoad_Mask optSrdIncForRow=1 */

/******************************************/
/* Global Write Alpha Beta Batch #0 (d1,d0,vc1,vc0) = */
/*    (0,0,0,0:vw4); (0,0,1,0:vw4); (0,0,2,0:vw4); (0,0,3,0:vw4) */
/******************************************/

/* calc coords, apply mask, and issue loads (if necessary) */
/* (d1,vc1,d0,vc0)=(0,0,0,0) */
_v_add_lshl_u32 v23, v18, v16, 0x1                 // optSingleColVgpr scaleToBpe: sharedAddrVgpr <- cinRowPtr + coord0, scaled by BPE. BSHERE:coord0=16, coord0Vgpr=16
_buffer_load_b64 v[24:25], v23, s[sgprSrdC:sgprSrdC+3], 0, offen offset:0 // load C for beta calc
/* (d1,vc1,d0,vc0)=(0,1,0,0) */
s_lshl_b32  s38, s[sgprStrideC1J], 1               // incToNextRow: Scale by BPE
s_add_u32  s[sgprSrdC+0], s[sgprSrdC+0], s38       // incToNextRow: gra SRD += inc(lower)
s_addc_u32  s[sgprSrdC+1], s[sgprSrdC+1], 0        // incToNextRow: gra SRD += inc(upper)
_buffer_load_b64 v[26:27], v23, s[sgprSrdC:sgprSrdC+3], 0, offen offset:0 // load C for beta calc
/* (d1,vc1,d0,vc0)=(0,2,0,0) */
s_lshl_b32  s38, s[sgprStrideC1J], 1               // incToNextRow: Scale by BPE
s_add_u32  s[sgprSrdC+0], s[sgprSrdC+0], s38       // incToNextRow: gra SRD += inc(lower)
s_addc_u32  s[sgprSrdC+1], s[sgprSrdC+1], 0        // incToNextRow: gra SRD += inc(upper)
	;; [unrolled: 5-line block ×3, first 2 shown]
_buffer_load_b64 v[30:31], v23, s[sgprSrdC:sgprSrdC+3], 0, offen offset:0 // load C for beta calc
_v_add_lshl_u32 v22, v19, v16, 0x1                 // optSingleColVgpr scaleToBpe: sharedAddrVgpr <- cinRowPtr + coord0, scaled by BPE. BSHERE:coord0=16, coord0Vgpr=16

/* rC *= alpha batchElements=[(0, 0, 0, 0), (0, 0, 1, 0), (0, 0, 2, 0), (0, 0, 3, 0)] */
v_mul_f32 v[vgprValuC+0], s[sgprAlpha], v[vgprValuC+0] // *= alpha
v_mul_f32 v[vgprValuC+1], s[sgprAlpha], v[vgprValuC+1] // *= alpha
	;; [unrolled: 1-line block ×16, first 2 shown]

/* apply mask, calc new C and issue writes */

s_waitcnt vmcnt(3)                                 // wait C (interleaved) 3 = 4 - 0 + 0 - 1
v_fma_mix_f32 v[vgprValuC+0], s[sgprBeta], v24, v[vgprValuC+0], op_sel:[0,0,0] op_sel_hi:[0,1,0] // //C*=beta
v_fma_mix_f32 v[vgprValuC+1], s[sgprBeta], v24, v[vgprValuC+1], op_sel:[0,1,0] op_sel_hi:[0,1,0] // //C*=beta
	;; [unrolled: 1-line block ×4, first 2 shown]
v_cvt_f16_f32 v[vgprValuC+0], v[vgprValuC+0]       // convert C to fp16
v_cvt_f16_f32 v[vgprValuC+1], v[vgprValuC+1]       // convert C to fp16
v_pack_b32_f16 v0, v[vgprValuC+0], v[vgprValuC+1]  // Pack with neighbor
v_cvt_f16_f32 v[vgprValuC+2], v[vgprValuC+2]       // convert C to fp16
v_cvt_f16_f32 v[vgprValuC+3], v[vgprValuC+3]       // convert C to fp16
v_pack_b32_f16 v1, v[vgprValuC+2], v[vgprValuC+3]  // Pack with neighbor
_buffer_store_b64 v[0:1], v22, s[sgprSrdD:sgprSrdD+3], 0, offen, offset:0 // store D

s_waitcnt vmcnt(3)                                 // wait C (interleaved) 3 = 4 - 1 + 1 - 1
v_fma_mix_f32 v[vgprValuC+4], s[sgprBeta], v26, v[vgprValuC+4], op_sel:[0,0,0] op_sel_hi:[0,1,0] // //C*=beta
v_fma_mix_f32 v[vgprValuC+5], s[sgprBeta], v26, v[vgprValuC+5], op_sel:[0,1,0] op_sel_hi:[0,1,0] // //C*=beta
	;; [unrolled: 1-line block ×4, first 2 shown]
v_cvt_f16_f32 v[vgprValuC+4], v[vgprValuC+4]       // convert C to fp16
v_cvt_f16_f32 v[vgprValuC+5], v[vgprValuC+5]       // convert C to fp16
v_pack_b32_f16 v4, v[vgprValuC+4], v[vgprValuC+5]  // Pack with neighbor
v_cvt_f16_f32 v[vgprValuC+6], v[vgprValuC+6]       // convert C to fp16
v_cvt_f16_f32 v[vgprValuC+7], v[vgprValuC+7]       // convert C to fp16
v_pack_b32_f16 v5, v[vgprValuC+6], v[vgprValuC+7]  // Pack with neighbor
s_lshl_b32  s38, s[sgprStrideD1J], 1               // incToNextRow: Scale by BPE
s_add_u32  s[sgprSrdD+0], s[sgprSrdD+0], s38       // incToNextRow: gra SRD += inc(lower)
s_addc_u32  s[sgprSrdD+1], s[sgprSrdD+1], 0        // incToNextRow: gra SRD += inc(upper)
_buffer_store_b64 v[4:5], v22, s[sgprSrdD:sgprSrdD+3], 0, offen, offset:0 // store D

s_waitcnt vmcnt(3)                                 // wait C (interleaved) 3 = 4 - 2 + 2 - 1
v_fma_mix_f32 v[vgprValuC+8], s[sgprBeta], v28, v[vgprValuC+8], op_sel:[0,0,0] op_sel_hi:[0,1,0] // //C*=beta
v_fma_mix_f32 v[vgprValuC+9], s[sgprBeta], v28, v[vgprValuC+9], op_sel:[0,1,0] op_sel_hi:[0,1,0] // //C*=beta
	;; [unrolled: 1-line block ×4, first 2 shown]
v_cvt_f16_f32 v[vgprValuC+8], v[vgprValuC+8]       // convert C to fp16
v_cvt_f16_f32 v[vgprValuC+9], v[vgprValuC+9]       // convert C to fp16
v_pack_b32_f16 v8, v[vgprValuC+8], v[vgprValuC+9]  // Pack with neighbor
v_cvt_f16_f32 v[vgprValuC+10], v[vgprValuC+10]     // convert C to fp16
v_cvt_f16_f32 v[vgprValuC+11], v[vgprValuC+11]     // convert C to fp16
v_pack_b32_f16 v9, v[vgprValuC+10], v[vgprValuC+11] // Pack with neighbor
s_lshl_b32  s38, s[sgprStrideD1J], 1               // incToNextRow: Scale by BPE
s_add_u32  s[sgprSrdD+0], s[sgprSrdD+0], s38       // incToNextRow: gra SRD += inc(lower)
s_addc_u32  s[sgprSrdD+1], s[sgprSrdD+1], 0        // incToNextRow: gra SRD += inc(upper)
_buffer_store_b64 v[8:9], v22, s[sgprSrdD:sgprSrdD+3], 0, offen, offset:0 // store D

s_waitcnt vmcnt(3)                                 // wait C (interleaved) 3 = 4 - 3 + 3 - 1
v_fma_mix_f32 v[vgprValuC+12], s[sgprBeta], v30, v[vgprValuC+12], op_sel:[0,0,0] op_sel_hi:[0,1,0] // //C*=beta
v_fma_mix_f32 v[vgprValuC+13], s[sgprBeta], v30, v[vgprValuC+13], op_sel:[0,1,0] op_sel_hi:[0,1,0] // //C*=beta
	;; [unrolled: 1-line block ×4, first 2 shown]
v_cvt_f16_f32 v[vgprValuC+12], v[vgprValuC+12]     // convert C to fp16
v_cvt_f16_f32 v[vgprValuC+13], v[vgprValuC+13]     // convert C to fp16
v_pack_b32_f16 v12, v[vgprValuC+12], v[vgprValuC+13] // Pack with neighbor
v_cvt_f16_f32 v[vgprValuC+14], v[vgprValuC+14]     // convert C to fp16
v_cvt_f16_f32 v[vgprValuC+15], v[vgprValuC+15]     // convert C to fp16
v_pack_b32_f16 v13, v[vgprValuC+14], v[vgprValuC+15] // Pack with neighbor
s_lshl_b32  s38, s[sgprStrideD1J], 1               // incToNextRow: Scale by BPE
s_add_u32  s[sgprSrdD+0], s[sgprSrdD+0], s38       // incToNextRow: gra SRD += inc(lower)
s_addc_u32  s[sgprSrdD+1], s[sgprSrdD+1], 0        // incToNextRow: gra SRD += inc(upper)
_buffer_store_b64 v[12:13], v22, s[sgprSrdD:sgprSrdD+3], 0, offen, offset:0 // store D
s_branch label_GW_End_52                           // jump to end
GW_B1_E1_51:

/* edge=1, allocate 6 sgpr. perBatchTmpS=4 perBatchMaskS=2 perElementMaskS=0 elementsPerBatch=24 */
/* optSingleColVgpr=0 optSharedColVgpr=0 optSGPRUsage=BufferLoad_Edge_Mask optSrdIncForRow=0 */

/******************************************/
/* Global Write Alpha Beta Edge Batch #0 (d1,d0,vc1,vc0) = */
/*    (0,0,0,0:vw2); (0,0,0,2:vw2); (0,0,1,0:vw2); (0,0,1,2:vw2); (0,0,2,0:vw2); (0,0,2,2:vw2); (0,0,3,0:vw2); (0,0,3,2:vw2) */
/******************************************/

/* calc coords, apply mask, and issue loads (if necessary) */
/* (d1,vc1,d0,vc0)=(0,0,0,0) */
v_cmp_lt_u32 s[38:39], v16, s[sgprSizeI]           // coord0 < size0
v_cmp_lt_u32 s[42:43], v17, s[sgprSizeJ]           // coord1 < size1
s_and_b64 s[42:43], s[38:39], s[42:43]             // in0 && in1
_v_add_lshl_u32 v22, v18, v16, 0x1                 // scaleToBpe: accumulate d0 lower and *= bpe into Cin addr
v_cndmask_b32 v22, -1, v22, s[42:43]               // LDC clip if OOB. offset
_buffer_load_b32 v23, v22, s[sgprSrdC:sgprSrdC+3], 0, offen offset:0 // load C for beta calc
_v_add_lshl_u32 v22, v19, v16, 0x1                 // scaleToBpe: accumulate d0 lower and *= bpe into Cin addr
v_cndmask_b32 v22, -1, v22, s[42:43]               // LDD clip if OOB. offset
/* (d1,vc1,d0,vc0)=(0,0,0,2) */
_v_add_co_u32 v20, vcc, v16, 2                     // coord0.1: coord0 += d0*sg0*VW + vc0
v_cmp_lt_u32 s[38:39], v20, s[sgprSizeI]           // coord0 < size0
v_cmp_lt_u32 s[42:43], v17, s[sgprSizeJ]           // coord1 < size1
s_and_b64 s[42:43], s[38:39], s[42:43]             // in0 && in1
_v_add_lshl_u32 v24, v18, v20, 0x1                 // scaleToBpe: accumulate d0 lower and *= bpe into Cin addr
v_cndmask_b32 v24, -1, v24, s[42:43]               // LDC clip if OOB. offset
_buffer_load_b32 v25, v24, s[sgprSrdC:sgprSrdC+3], 0, offen offset:0 // load C for beta calc
_v_add_lshl_u32 v24, v19, v20, 0x1                 // scaleToBpe: accumulate d0 lower and *= bpe into Cin addr
v_cndmask_b32 v24, -1, v24, s[42:43]               // LDD clip if OOB. offset
/* (d1,vc1,d0,vc0)=(0,1,0,0) */
_v_add_co_u32 v17, vcc, v17, 1                     // coord1.1: coord1Vgpr += d1*sg1*VW + vc1

/* Fix for UseInitialStridesCD, emitAddressSetupCode */
_v_add_u32 v18, v18, s[sgprStrideC1J]              // ROWINC- Move cinRowPtr to next row
_v_add_u32 v19, v19, s[sgprStrideD1J]              // Move coutRowPtr to next row
v_cmp_lt_u32 s[38:39], v16, s[sgprSizeI]           // coord0 < size0
v_cmp_lt_u32 s[42:43], v17, s[sgprSizeJ]           // coord1 < size1
s_and_b64 s[42:43], s[38:39], s[42:43]             // in0 && in1
_v_add_lshl_u32 v26, v18, v16, 0x1                 // scaleToBpe: accumulate d0 lower and *= bpe into Cin addr
v_cndmask_b32 v26, -1, v26, s[42:43]               // LDC clip if OOB. offset
_buffer_load_b32 v27, v26, s[sgprSrdC:sgprSrdC+3], 0, offen offset:0 // load C for beta calc
_v_add_lshl_u32 v26, v19, v16, 0x1                 // scaleToBpe: accumulate d0 lower and *= bpe into Cin addr
v_cndmask_b32 v26, -1, v26, s[42:43]               // LDD clip if OOB. offset
/* (d1,vc1,d0,vc0)=(0,1,0,2) */
_v_add_co_u32 v20, vcc, v16, 2                     // coord0.1: coord0 += d0*sg0*VW + vc0
v_cmp_lt_u32 s[38:39], v20, s[sgprSizeI]           // coord0 < size0
v_cmp_lt_u32 s[42:43], v17, s[sgprSizeJ]           // coord1 < size1
s_and_b64 s[42:43], s[38:39], s[42:43]             // in0 && in1
_v_add_lshl_u32 v28, v18, v20, 0x1                 // scaleToBpe: accumulate d0 lower and *= bpe into Cin addr
v_cndmask_b32 v28, -1, v28, s[42:43]               // LDC clip if OOB. offset
_buffer_load_b32 v29, v28, s[sgprSrdC:sgprSrdC+3], 0, offen offset:0 // load C for beta calc
_v_add_lshl_u32 v28, v19, v20, 0x1                 // scaleToBpe: accumulate d0 lower and *= bpe into Cin addr
v_cndmask_b32 v28, -1, v28, s[42:43]               // LDD clip if OOB. offset
/* (d1,vc1,d0,vc0)=(0,2,0,0) */
_v_add_co_u32 v17, vcc, v17, 1                     // coord1.1: coord1Vgpr += d1*sg1*VW + vc1

/* Fix for UseInitialStridesCD, emitAddressSetupCode */
_v_add_u32 v18, v18, s[sgprStrideC1J]              // ROWINC- Move cinRowPtr to next row
_v_add_u32 v19, v19, s[sgprStrideD1J]              // Move coutRowPtr to next row
	;; [unrolled: 24-line block ×3, first 2 shown]
v_cmp_lt_u32 s[38:39], v16, s[sgprSizeI]           // coord0 < size0
v_cmp_lt_u32 s[42:43], v17, s[sgprSizeJ]           // coord1 < size1
s_and_b64 s[42:43], s[38:39], s[42:43]             // in0 && in1
_v_add_lshl_u32 v34, v18, v16, 0x1                 // scaleToBpe: accumulate d0 lower and *= bpe into Cin addr
v_cndmask_b32 v34, -1, v34, s[42:43]               // LDC clip if OOB. offset
_buffer_load_b32 v35, v34, s[sgprSrdC:sgprSrdC+3], 0, offen offset:0 // load C for beta calc
_v_add_lshl_u32 v34, v19, v16, 0x1                 // scaleToBpe: accumulate d0 lower and *= bpe into Cin addr
v_cndmask_b32 v34, -1, v34, s[42:43]               // LDD clip if OOB. offset
/* (d1,vc1,d0,vc0)=(0,3,0,2) */
_v_add_co_u32 v20, vcc, v16, 2                     // coord0.1: coord0 += d0*sg0*VW + vc0
v_cmp_lt_u32 s[38:39], v20, s[sgprSizeI]           // coord0 < size0
v_cmp_lt_u32 s[42:43], v17, s[sgprSizeJ]           // coord1 < size1
s_and_b64 s[42:43], s[38:39], s[42:43]             // in0 && in1
_v_add_lshl_u32 v36, v18, v20, 0x1                 // scaleToBpe: accumulate d0 lower and *= bpe into Cin addr
v_cndmask_b32 v36, -1, v36, s[42:43]               // LDC clip if OOB. offset
_buffer_load_b32 v37, v36, s[sgprSrdC:sgprSrdC+3], 0, offen offset:0 // load C for beta calc
_v_add_lshl_u32 v36, v19, v20, 0x1                 // scaleToBpe: accumulate d0 lower and *= bpe into Cin addr
v_cndmask_b32 v36, -1, v36, s[42:43]               // LDD clip if OOB. offset

/* rC *= alpha batchElements=[(0, 0, 0, 0), (0, 0, 0, 2), (0, 0, 1, 0), (0, 0, 1, 2), (0, 0, 2, 0), (0, 0, 2, 2), (0, 0, 3, 0), (0, 0, 3, 2)] */
v_mul_f32 v[vgprValuC+0], s[sgprAlpha], v[vgprValuC+0] // *= alpha
v_mul_f32 v[vgprValuC+1], s[sgprAlpha], v[vgprValuC+1] // *= alpha
	;; [unrolled: 1-line block ×16, first 2 shown]
s_waitcnt vmcnt(0)                                 // wait C

/* apply mask, calc new C and issue writes */
v_fma_mix_f32 v[vgprValuC+0], s[sgprBeta], v23, v[vgprValuC+0], op_sel:[0,0,0] op_sel_hi:[0,1,0] // //C*=beta
v_fma_mix_f32 v[vgprValuC+1], s[sgprBeta], v23, v[vgprValuC+1], op_sel:[0,1,0] op_sel_hi:[0,1,0] // //C*=beta
v_cvt_f16_f32 v[vgprValuC+0], v[vgprValuC+0]       // convert C to fp16
v_cvt_f16_f32 v[vgprValuC+1], v[vgprValuC+1]       // convert C to fp16
v_pack_b32_f16 v0, v[vgprValuC+0], v[vgprValuC+1]  // Pack with neighbor
_buffer_store_b32 v0, v22, s[sgprSrdD:sgprSrdD+3], 0, offen, offset:0 // store D
v_fma_mix_f32 v[vgprValuC+2], s[sgprBeta], v25, v[vgprValuC+2], op_sel:[0,0,0] op_sel_hi:[0,1,0] // //C*=beta
v_fma_mix_f32 v[vgprValuC+3], s[sgprBeta], v25, v[vgprValuC+3], op_sel:[0,1,0] op_sel_hi:[0,1,0] // //C*=beta
v_cvt_f16_f32 v[vgprValuC+2], v[vgprValuC+2]       // convert C to fp16
v_cvt_f16_f32 v[vgprValuC+3], v[vgprValuC+3]       // convert C to fp16
v_pack_b32_f16 v2, v[vgprValuC+2], v[vgprValuC+3]  // Pack with neighbor
_buffer_store_b32 v2, v24, s[sgprSrdD:sgprSrdD+3], 0, offen, offset:0 // store D
	;; [unrolled: 6-line block ×5, first 2 shown]
v_fma_mix_f32 v[vgprValuC+10], s[sgprBeta], v33, v[vgprValuC+10], op_sel:[0,0,0] op_sel_hi:[0,1,0] // //C*=beta
v_fma_mix_f32 v[vgprValuC+11], s[sgprBeta], v33, v[vgprValuC+11], op_sel:[0,1,0] op_sel_hi:[0,1,0] // //C*=beta
v_cvt_f16_f32 v[vgprValuC+10], v[vgprValuC+10]     // convert C to fp16
v_cvt_f16_f32 v[vgprValuC+11], v[vgprValuC+11]     // convert C to fp16
v_pack_b32_f16 v10, v[vgprValuC+10], v[vgprValuC+11] // Pack with neighbor
_buffer_store_b32 v10, v32, s[sgprSrdD:sgprSrdD+3], 0, offen, offset:0 // store D
v_fma_mix_f32 v[vgprValuC+12], s[sgprBeta], v35, v[vgprValuC+12], op_sel:[0,0,0] op_sel_hi:[0,1,0] // //C*=beta
v_fma_mix_f32 v[vgprValuC+13], s[sgprBeta], v35, v[vgprValuC+13], op_sel:[0,1,0] op_sel_hi:[0,1,0] // //C*=beta
v_cvt_f16_f32 v[vgprValuC+12], v[vgprValuC+12]     // convert C to fp16
v_cvt_f16_f32 v[vgprValuC+13], v[vgprValuC+13]     // convert C to fp16
v_pack_b32_f16 v12, v[vgprValuC+12], v[vgprValuC+13] // Pack with neighbor
_buffer_store_b32 v12, v34, s[sgprSrdD:sgprSrdD+3], 0, offen, offset:0 // store D
	;; [unrolled: 6-line block ×3, first 2 shown]
s_branch label_GW_End_52                           // jump to end
label_GW_End_52:

label_0057:  /// KernelEnd
s_endpgm                                           // Kernel End

